;; amdgpu-corpus repo=ROCm/rocFFT kind=compiled arch=gfx1201 opt=O3
	.text
	.amdgcn_target "amdgcn-amd-amdhsa--gfx1201"
	.amdhsa_code_object_version 6
	.protected	fft_rtc_fwd_len480_factors_10_8_6_wgs_64_tpt_16_halfLds_half_op_CI_CI_unitstride_sbrr_dirReg ; -- Begin function fft_rtc_fwd_len480_factors_10_8_6_wgs_64_tpt_16_halfLds_half_op_CI_CI_unitstride_sbrr_dirReg
	.globl	fft_rtc_fwd_len480_factors_10_8_6_wgs_64_tpt_16_halfLds_half_op_CI_CI_unitstride_sbrr_dirReg
	.p2align	8
	.type	fft_rtc_fwd_len480_factors_10_8_6_wgs_64_tpt_16_halfLds_half_op_CI_CI_unitstride_sbrr_dirReg,@function
fft_rtc_fwd_len480_factors_10_8_6_wgs_64_tpt_16_halfLds_half_op_CI_CI_unitstride_sbrr_dirReg: ; @fft_rtc_fwd_len480_factors_10_8_6_wgs_64_tpt_16_halfLds_half_op_CI_CI_unitstride_sbrr_dirReg
; %bb.0:
	s_clause 0x2
	s_load_b128 s[8:11], s[0:1], 0x0
	s_load_b128 s[4:7], s[0:1], 0x58
	;; [unrolled: 1-line block ×3, first 2 shown]
	v_lshrrev_b32_e32 v7, 4, v0
	v_mov_b32_e32 v3, 0
	v_mov_b32_e32 v1, 0
	;; [unrolled: 1-line block ×3, first 2 shown]
	s_delay_alu instid0(VALU_DEP_4) | instskip(NEXT) | instid1(VALU_DEP_4)
	v_lshl_or_b32 v5, ttmp9, 2, v7
	v_mov_b32_e32 v6, v3
	s_wait_kmcnt 0x0
	v_cmp_lt_u64_e64 s2, s[10:11], 2
	s_delay_alu instid0(VALU_DEP_1)
	s_and_b32 vcc_lo, exec_lo, s2
	s_cbranch_vccnz .LBB0_8
; %bb.1:
	s_load_b64 s[2:3], s[0:1], 0x10
	v_mov_b32_e32 v1, 0
	v_mov_b32_e32 v2, 0
	s_add_nc_u64 s[16:17], s[14:15], 8
	s_add_nc_u64 s[18:19], s[12:13], 8
	s_mov_b64 s[20:21], 1
	s_delay_alu instid0(VALU_DEP_1)
	v_dual_mov_b32 v17, v2 :: v_dual_mov_b32 v16, v1
	s_wait_kmcnt 0x0
	s_add_nc_u64 s[22:23], s[2:3], 8
	s_mov_b32 s3, 0
.LBB0_2:                                ; =>This Inner Loop Header: Depth=1
	s_load_b64 s[24:25], s[22:23], 0x0
                                        ; implicit-def: $vgpr18_vgpr19
	s_mov_b32 s2, exec_lo
	s_wait_kmcnt 0x0
	v_or_b32_e32 v4, s25, v6
	s_delay_alu instid0(VALU_DEP_1)
	v_cmpx_ne_u64_e32 0, v[3:4]
	s_wait_alu 0xfffe
	s_xor_b32 s26, exec_lo, s2
	s_cbranch_execz .LBB0_4
; %bb.3:                                ;   in Loop: Header=BB0_2 Depth=1
	s_cvt_f32_u32 s2, s24
	s_cvt_f32_u32 s27, s25
	s_sub_nc_u64 s[30:31], 0, s[24:25]
	s_wait_alu 0xfffe
	s_delay_alu instid0(SALU_CYCLE_1) | instskip(SKIP_1) | instid1(SALU_CYCLE_2)
	s_fmamk_f32 s2, s27, 0x4f800000, s2
	s_wait_alu 0xfffe
	v_s_rcp_f32 s2, s2
	s_delay_alu instid0(TRANS32_DEP_1) | instskip(SKIP_1) | instid1(SALU_CYCLE_2)
	s_mul_f32 s2, s2, 0x5f7ffffc
	s_wait_alu 0xfffe
	s_mul_f32 s27, s2, 0x2f800000
	s_wait_alu 0xfffe
	s_delay_alu instid0(SALU_CYCLE_2) | instskip(SKIP_1) | instid1(SALU_CYCLE_2)
	s_trunc_f32 s27, s27
	s_wait_alu 0xfffe
	s_fmamk_f32 s2, s27, 0xcf800000, s2
	s_cvt_u32_f32 s29, s27
	s_wait_alu 0xfffe
	s_delay_alu instid0(SALU_CYCLE_1) | instskip(SKIP_1) | instid1(SALU_CYCLE_2)
	s_cvt_u32_f32 s28, s2
	s_wait_alu 0xfffe
	s_mul_u64 s[34:35], s[30:31], s[28:29]
	s_wait_alu 0xfffe
	s_mul_hi_u32 s37, s28, s35
	s_mul_i32 s36, s28, s35
	s_mul_hi_u32 s2, s28, s34
	s_mul_i32 s33, s29, s34
	s_wait_alu 0xfffe
	s_add_nc_u64 s[36:37], s[2:3], s[36:37]
	s_mul_hi_u32 s27, s29, s34
	s_mul_hi_u32 s38, s29, s35
	s_add_co_u32 s2, s36, s33
	s_wait_alu 0xfffe
	s_add_co_ci_u32 s2, s37, s27
	s_mul_i32 s34, s29, s35
	s_add_co_ci_u32 s35, s38, 0
	s_wait_alu 0xfffe
	s_add_nc_u64 s[34:35], s[2:3], s[34:35]
	s_wait_alu 0xfffe
	v_add_co_u32 v4, s2, s28, s34
	s_delay_alu instid0(VALU_DEP_1) | instskip(SKIP_1) | instid1(VALU_DEP_1)
	s_cmp_lg_u32 s2, 0
	s_add_co_ci_u32 s29, s29, s35
	v_readfirstlane_b32 s28, v4
	s_wait_alu 0xfffe
	s_delay_alu instid0(VALU_DEP_1)
	s_mul_u64 s[30:31], s[30:31], s[28:29]
	s_wait_alu 0xfffe
	s_mul_hi_u32 s35, s28, s31
	s_mul_i32 s34, s28, s31
	s_mul_hi_u32 s2, s28, s30
	s_mul_i32 s33, s29, s30
	s_wait_alu 0xfffe
	s_add_nc_u64 s[34:35], s[2:3], s[34:35]
	s_mul_hi_u32 s27, s29, s30
	s_mul_hi_u32 s28, s29, s31
	s_wait_alu 0xfffe
	s_add_co_u32 s2, s34, s33
	s_add_co_ci_u32 s2, s35, s27
	s_mul_i32 s30, s29, s31
	s_add_co_ci_u32 s31, s28, 0
	s_wait_alu 0xfffe
	s_add_nc_u64 s[30:31], s[2:3], s[30:31]
	s_wait_alu 0xfffe
	v_add_co_u32 v4, s2, v4, s30
	s_delay_alu instid0(VALU_DEP_1) | instskip(SKIP_1) | instid1(VALU_DEP_1)
	s_cmp_lg_u32 s2, 0
	s_add_co_ci_u32 s2, s29, s31
	v_mul_hi_u32 v14, v5, v4
	s_wait_alu 0xfffe
	v_mad_co_u64_u32 v[8:9], null, v5, s2, 0
	v_mad_co_u64_u32 v[10:11], null, v6, v4, 0
	;; [unrolled: 1-line block ×3, first 2 shown]
	s_delay_alu instid0(VALU_DEP_3) | instskip(SKIP_1) | instid1(VALU_DEP_4)
	v_add_co_u32 v4, vcc_lo, v14, v8
	s_wait_alu 0xfffd
	v_add_co_ci_u32_e32 v8, vcc_lo, 0, v9, vcc_lo
	s_delay_alu instid0(VALU_DEP_2) | instskip(SKIP_1) | instid1(VALU_DEP_2)
	v_add_co_u32 v4, vcc_lo, v4, v10
	s_wait_alu 0xfffd
	v_add_co_ci_u32_e32 v4, vcc_lo, v8, v11, vcc_lo
	s_wait_alu 0xfffd
	v_add_co_ci_u32_e32 v8, vcc_lo, 0, v13, vcc_lo
	s_delay_alu instid0(VALU_DEP_2) | instskip(SKIP_1) | instid1(VALU_DEP_2)
	v_add_co_u32 v4, vcc_lo, v4, v12
	s_wait_alu 0xfffd
	v_add_co_ci_u32_e32 v10, vcc_lo, 0, v8, vcc_lo
	s_delay_alu instid0(VALU_DEP_2) | instskip(SKIP_1) | instid1(VALU_DEP_3)
	v_mul_lo_u32 v11, s25, v4
	v_mad_co_u64_u32 v[8:9], null, s24, v4, 0
	v_mul_lo_u32 v12, s24, v10
	s_delay_alu instid0(VALU_DEP_2) | instskip(NEXT) | instid1(VALU_DEP_2)
	v_sub_co_u32 v8, vcc_lo, v5, v8
	v_add3_u32 v9, v9, v12, v11
	s_delay_alu instid0(VALU_DEP_1) | instskip(SKIP_1) | instid1(VALU_DEP_1)
	v_sub_nc_u32_e32 v11, v6, v9
	s_wait_alu 0xfffd
	v_subrev_co_ci_u32_e64 v11, s2, s25, v11, vcc_lo
	v_add_co_u32 v12, s2, v4, 2
	s_wait_alu 0xf1ff
	v_add_co_ci_u32_e64 v13, s2, 0, v10, s2
	v_sub_co_u32 v14, s2, v8, s24
	v_sub_co_ci_u32_e32 v9, vcc_lo, v6, v9, vcc_lo
	s_wait_alu 0xf1ff
	v_subrev_co_ci_u32_e64 v11, s2, 0, v11, s2
	s_delay_alu instid0(VALU_DEP_3) | instskip(NEXT) | instid1(VALU_DEP_3)
	v_cmp_le_u32_e32 vcc_lo, s24, v14
	v_cmp_eq_u32_e64 s2, s25, v9
	s_wait_alu 0xfffd
	v_cndmask_b32_e64 v14, 0, -1, vcc_lo
	v_cmp_le_u32_e32 vcc_lo, s25, v11
	s_wait_alu 0xfffd
	v_cndmask_b32_e64 v15, 0, -1, vcc_lo
	v_cmp_le_u32_e32 vcc_lo, s24, v8
	;; [unrolled: 3-line block ×3, first 2 shown]
	s_wait_alu 0xfffd
	v_cndmask_b32_e64 v18, 0, -1, vcc_lo
	v_cmp_eq_u32_e32 vcc_lo, s25, v11
	s_wait_alu 0xf1ff
	s_delay_alu instid0(VALU_DEP_2)
	v_cndmask_b32_e64 v8, v18, v8, s2
	s_wait_alu 0xfffd
	v_cndmask_b32_e32 v11, v15, v14, vcc_lo
	v_add_co_u32 v14, vcc_lo, v4, 1
	s_wait_alu 0xfffd
	v_add_co_ci_u32_e32 v15, vcc_lo, 0, v10, vcc_lo
	s_delay_alu instid0(VALU_DEP_3) | instskip(SKIP_2) | instid1(VALU_DEP_3)
	v_cmp_ne_u32_e32 vcc_lo, 0, v11
	s_wait_alu 0xfffd
	v_cndmask_b32_e32 v11, v14, v12, vcc_lo
	v_cndmask_b32_e32 v9, v15, v13, vcc_lo
	v_cmp_ne_u32_e32 vcc_lo, 0, v8
	s_wait_alu 0xfffd
	s_delay_alu instid0(VALU_DEP_2)
	v_dual_cndmask_b32 v18, v4, v11 :: v_dual_cndmask_b32 v19, v10, v9
.LBB0_4:                                ;   in Loop: Header=BB0_2 Depth=1
	s_wait_alu 0xfffe
	s_and_not1_saveexec_b32 s2, s26
	s_cbranch_execz .LBB0_6
; %bb.5:                                ;   in Loop: Header=BB0_2 Depth=1
	v_cvt_f32_u32_e32 v4, s24
	s_sub_co_i32 s26, 0, s24
	v_mov_b32_e32 v19, v3
	s_delay_alu instid0(VALU_DEP_2) | instskip(NEXT) | instid1(TRANS32_DEP_1)
	v_rcp_iflag_f32_e32 v4, v4
	v_mul_f32_e32 v4, 0x4f7ffffe, v4
	s_delay_alu instid0(VALU_DEP_1) | instskip(SKIP_1) | instid1(VALU_DEP_1)
	v_cvt_u32_f32_e32 v4, v4
	s_wait_alu 0xfffe
	v_mul_lo_u32 v8, s26, v4
	s_delay_alu instid0(VALU_DEP_1) | instskip(NEXT) | instid1(VALU_DEP_1)
	v_mul_hi_u32 v8, v4, v8
	v_add_nc_u32_e32 v4, v4, v8
	s_delay_alu instid0(VALU_DEP_1) | instskip(NEXT) | instid1(VALU_DEP_1)
	v_mul_hi_u32 v4, v5, v4
	v_mul_lo_u32 v8, v4, s24
	s_delay_alu instid0(VALU_DEP_1) | instskip(NEXT) | instid1(VALU_DEP_1)
	v_sub_nc_u32_e32 v8, v5, v8
	v_subrev_nc_u32_e32 v10, s24, v8
	v_cmp_le_u32_e32 vcc_lo, s24, v8
	s_wait_alu 0xfffd
	s_delay_alu instid0(VALU_DEP_2) | instskip(NEXT) | instid1(VALU_DEP_1)
	v_dual_cndmask_b32 v8, v8, v10 :: v_dual_add_nc_u32 v9, 1, v4
	v_cndmask_b32_e32 v4, v4, v9, vcc_lo
	s_delay_alu instid0(VALU_DEP_2) | instskip(NEXT) | instid1(VALU_DEP_2)
	v_cmp_le_u32_e32 vcc_lo, s24, v8
	v_add_nc_u32_e32 v9, 1, v4
	s_wait_alu 0xfffd
	s_delay_alu instid0(VALU_DEP_1)
	v_cndmask_b32_e32 v18, v4, v9, vcc_lo
.LBB0_6:                                ;   in Loop: Header=BB0_2 Depth=1
	s_wait_alu 0xfffe
	s_or_b32 exec_lo, exec_lo, s2
	v_mul_lo_u32 v4, v19, s24
	s_delay_alu instid0(VALU_DEP_2)
	v_mul_lo_u32 v10, v18, s25
	s_load_b64 s[26:27], s[18:19], 0x0
	v_mad_co_u64_u32 v[8:9], null, v18, s24, 0
	s_load_b64 s[24:25], s[16:17], 0x0
	s_add_nc_u64 s[20:21], s[20:21], 1
	s_add_nc_u64 s[16:17], s[16:17], 8
	s_wait_alu 0xfffe
	v_cmp_ge_u64_e64 s2, s[20:21], s[10:11]
	s_add_nc_u64 s[18:19], s[18:19], 8
	s_add_nc_u64 s[22:23], s[22:23], 8
	v_add3_u32 v4, v9, v10, v4
	v_sub_co_u32 v5, vcc_lo, v5, v8
	s_wait_alu 0xfffd
	s_delay_alu instid0(VALU_DEP_2) | instskip(SKIP_2) | instid1(VALU_DEP_1)
	v_sub_co_ci_u32_e32 v4, vcc_lo, v6, v4, vcc_lo
	s_and_b32 vcc_lo, exec_lo, s2
	s_wait_kmcnt 0x0
	v_mul_lo_u32 v6, s26, v4
	v_mul_lo_u32 v8, s27, v5
	v_mad_co_u64_u32 v[1:2], null, s26, v5, v[1:2]
	v_mul_lo_u32 v4, s24, v4
	v_mul_lo_u32 v9, s25, v5
	v_mad_co_u64_u32 v[16:17], null, s24, v5, v[16:17]
	s_delay_alu instid0(VALU_DEP_4) | instskip(NEXT) | instid1(VALU_DEP_2)
	v_add3_u32 v2, v8, v2, v6
	v_add3_u32 v17, v9, v17, v4
	s_wait_alu 0xfffe
	s_cbranch_vccnz .LBB0_9
; %bb.7:                                ;   in Loop: Header=BB0_2 Depth=1
	v_dual_mov_b32 v5, v18 :: v_dual_mov_b32 v6, v19
	s_branch .LBB0_2
.LBB0_8:
	v_dual_mov_b32 v17, v2 :: v_dual_mov_b32 v16, v1
	v_dual_mov_b32 v19, v6 :: v_dual_mov_b32 v18, v5
.LBB0_9:
	s_load_b64 s[0:1], s[0:1], 0x28
	v_and_b32_e32 v20, 15, v0
	s_lshl_b64 s[10:11], s[10:11], 3
                                        ; implicit-def: $vgpr21
                                        ; implicit-def: $vgpr22
                                        ; implicit-def: $vgpr23
	s_wait_kmcnt 0x0
	v_cmp_gt_u64_e32 vcc_lo, s[0:1], v[18:19]
	v_cmp_le_u64_e64 s0, s[0:1], v[18:19]
	s_delay_alu instid0(VALU_DEP_1)
	s_and_saveexec_b32 s1, s0
	s_wait_alu 0xfffe
	s_xor_b32 s0, exec_lo, s1
; %bb.10:
	v_and_b32_e32 v20, 15, v0
                                        ; implicit-def: $vgpr1_vgpr2
	s_delay_alu instid0(VALU_DEP_1)
	v_or_b32_e32 v21, 16, v20
	v_or_b32_e32 v22, 32, v20
	;; [unrolled: 1-line block ×3, first 2 shown]
; %bb.11:
	s_wait_alu 0xfffe
	s_or_saveexec_b32 s1, s0
	s_add_nc_u64 s[2:3], s[14:15], s[10:11]
                                        ; implicit-def: $vgpr63
                                        ; implicit-def: $vgpr33
                                        ; implicit-def: $vgpr72
                                        ; implicit-def: $vgpr67
                                        ; implicit-def: $vgpr75
                                        ; implicit-def: $vgpr61
                                        ; implicit-def: $vgpr73
                                        ; implicit-def: $vgpr62
                                        ; implicit-def: $vgpr70
                                        ; implicit-def: $vgpr64
                                        ; implicit-def: $vgpr15
                                        ; implicit-def: $vgpr28
                                        ; implicit-def: $vgpr36
                                        ; implicit-def: $vgpr12
                                        ; implicit-def: $vgpr57
                                        ; implicit-def: $vgpr13
                                        ; implicit-def: $vgpr59
                                        ; implicit-def: $vgpr14
                                        ; implicit-def: $vgpr60
                                        ; implicit-def: $vgpr35
                                        ; implicit-def: $vgpr0
                                        ; implicit-def: $vgpr30
                                        ; implicit-def: $vgpr5
                                        ; implicit-def: $vgpr6
                                        ; implicit-def: $vgpr8
                                        ; implicit-def: $vgpr3
                                        ; implicit-def: $vgpr9
                                        ; implicit-def: $vgpr4
                                        ; implicit-def: $vgpr10
                                        ; implicit-def: $vgpr11
                                        ; implicit-def: $vgpr29
                                        ; implicit-def: $vgpr27
                                        ; implicit-def: $vgpr25
                                        ; implicit-def: $vgpr26
                                        ; implicit-def: $vgpr24
                                        ; implicit-def: $vgpr38
                                        ; implicit-def: $vgpr32
                                        ; implicit-def: $vgpr34
                                        ; implicit-def: $vgpr37
                                        ; implicit-def: $vgpr31
                                        ; implicit-def: $vgpr43
                                        ; implicit-def: $vgpr40
                                        ; implicit-def: $vgpr42
                                        ; implicit-def: $vgpr41
                                        ; implicit-def: $vgpr39
	s_wait_alu 0xfffe
	s_xor_b32 exec_lo, exec_lo, s1
	s_cbranch_execz .LBB0_13
; %bb.12:
	s_add_nc_u64 s[10:11], s[12:13], s[10:11]
	v_or_b32_e32 v23, 48, v20
	s_load_b64 s[10:11], s[10:11], 0x0
	v_or_b32_e32 v21, 16, v20
	v_or_b32_e32 v22, 32, v20
	s_wait_kmcnt 0x0
	v_mul_lo_u32 v0, s11, v18
	v_mul_lo_u32 v5, s10, v19
	v_mad_co_u64_u32 v[3:4], null, s10, v18, 0
	s_delay_alu instid0(VALU_DEP_1) | instskip(SKIP_1) | instid1(VALU_DEP_2)
	v_add3_u32 v4, v4, v5, v0
	v_lshlrev_b64_e32 v[0:1], 2, v[1:2]
	v_lshlrev_b64_e32 v[3:4], 2, v[3:4]
	s_delay_alu instid0(VALU_DEP_1) | instskip(SKIP_1) | instid1(VALU_DEP_2)
	v_add_co_u32 v2, s0, s4, v3
	s_wait_alu 0xf1ff
	v_add_co_ci_u32_e64 v3, s0, s5, v4, s0
	v_lshlrev_b32_e32 v4, 2, v20
	s_delay_alu instid0(VALU_DEP_3) | instskip(SKIP_1) | instid1(VALU_DEP_3)
	v_add_co_u32 v0, s0, v2, v0
	s_wait_alu 0xf1ff
	v_add_co_ci_u32_e64 v1, s0, v3, v1, s0
	s_delay_alu instid0(VALU_DEP_2) | instskip(SKIP_1) | instid1(VALU_DEP_2)
	v_add_co_u32 v0, s0, v0, v4
	s_wait_alu 0xf1ff
	v_add_co_ci_u32_e64 v1, s0, 0, v1, s0
	s_clause 0x1d
	global_load_b32 v33, v[0:1], off
	global_load_b32 v28, v[0:1], off offset:64
	global_load_b32 v12, v[0:1], off offset:448
	;; [unrolled: 1-line block ×29, first 2 shown]
	s_wait_loadcnt 0x1d
	v_lshrrev_b32_e32 v63, 16, v33
	s_wait_loadcnt 0x1c
	v_lshrrev_b32_e32 v15, 16, v28
	;; [unrolled: 2-line block ×15, first 2 shown]
.LBB0_13:
	s_or_b32 exec_lo, exec_lo, s1
	v_add_f16_e32 v1, v61, v62
	v_add_f16_e32 v2, v33, v67
	v_sub_f16_e32 v44, v72, v70
	v_sub_f16_e32 v47, v64, v62
	;; [unrolled: 1-line block ×3, first 2 shown]
	v_fma_f16 v46, -0.5, v1, v33
	v_sub_f16_e32 v1, v67, v61
	v_add_f16_e32 v2, v2, v61
	v_add_f16_e32 v48, v67, v64
	s_wait_loadcnt 0x2
	v_pk_add_f16 v50, v40, v43 neg_lo:[0,1] neg_hi:[0,1]
	v_fmamk_f16 v49, v44, 0x3b9c, v46
	v_fmac_f16_e32 v46, 0xbb9c, v44
	v_add_f16_e32 v1, v1, v47
	v_add_f16_e32 v2, v2, v62
	v_pk_add_f16 v47, v41, v42 neg_lo:[0,1] neg_hi:[0,1]
	v_fmac_f16_e32 v49, 0x38b4, v45
	v_fmac_f16_e32 v46, 0xb8b4, v45
	v_fmac_f16_e32 v33, -0.5, v48
	v_add_f16_e32 v48, v2, v64
	v_pk_add_f16 v52, v43, v42 neg_lo:[0,1] neg_hi:[0,1]
	v_pk_add_f16 v2, v50, v47
	v_fmac_f16_e32 v49, 0x34f2, v1
	v_fmac_f16_e32 v46, 0x34f2, v1
	v_sub_f16_e32 v1, v61, v67
	v_sub_f16_e32 v47, v62, v64
	v_add_f16_e32 v50, v43, v42
	v_pk_add_f16 v53, v40, v41 neg_lo:[0,1] neg_hi:[0,1]
	v_bfi_b32 v2, 0xffff, v2, v52
	v_fmamk_f16 v51, v45, 0xbb9c, v33
	v_add_f16_e32 v1, v1, v47
	v_add_f16_e32 v47, v39, v40
	v_fma_f16 v50, -0.5, v50, v39
	v_lshrrev_b32_e32 v54, 16, v53
	v_pk_mul_f16 v55, 0x38b434f2, v2
	v_fmac_f16_e32 v33, 0x3b9c, v45
	v_add_f16_e32 v45, v47, v43
	v_lshrrev_b32_e32 v77, 16, v43
	v_fmamk_f16 v47, v54, 0x3b9c, v50
	v_lshrrev_b32_e32 v56, 16, v55
	v_lshrrev_b32_e32 v2, 16, v42
	v_fmac_f16_e32 v51, 0x38b4, v44
	v_fmac_f16_e32 v33, 0xb8b4, v44
	v_add_f16_e32 v44, v45, v42
	v_add_f16_e32 v45, v56, v47
	v_lshrrev_b32_e32 v80, 16, v39
	v_add_f16_e32 v47, v77, v2
	v_fmac_f16_e32 v51, 0x34f2, v1
	v_fmac_f16_e32 v33, 0x34f2, v1
	;; [unrolled: 1-line block ×3, first 2 shown]
	v_pk_add_f16 v43, v43, v40 neg_lo:[0,1] neg_hi:[0,1]
	v_fma_f16 v1, -0.5, v47, v80
	v_pk_add_f16 v47, v40, v41
	v_lshrrev_b32_e32 v82, 16, v40
	v_lshrrev_b32_e32 v79, 16, v41
	v_pk_mul_f16 v40, 0x3b9c, v52 op_sel_hi:[0,1]
	v_add_f16_e32 v44, v44, v41
	v_pk_fma_f16 v39, v47, 0.5, v39 op_sel_hi:[1,0,1] neg_lo:[1,0,0] neg_hi:[1,0,0]
	v_add_f16_e32 v78, v55, v45
	v_sub_f16_e32 v45, v50, v56
	v_pk_add_f16 v42, v42, v41 neg_lo:[0,1] neg_hi:[0,1]
	v_fmamk_f16 v76, v53, 0xbb9c, v1
	v_sub_f16_e32 v41, v82, v77
	v_sub_f16_e32 v47, v79, v2
	v_pk_mul_f16 v50, 0x38b4, v53 op_sel_hi:[0,1]
	v_pk_add_f16 v54, v39, v40 op_sel:[0,1] op_sel_hi:[1,0] neg_lo:[0,1] neg_hi:[0,1]
	v_pk_add_f16 v39, v40, v39 op_sel:[1,0] op_sel_hi:[0,1]
	v_fmac_f16_e32 v76, 0xb8b4, v52
	v_add_f16_e32 v40, v41, v47
	v_pk_add_f16 v41, v43, v42
	v_pk_add_f16 v42, v50, v54 op_sel:[1,0] op_sel_hi:[0,1]
	v_pk_add_f16 v39, v39, v50 op_sel:[0,1] op_sel_hi:[1,0] neg_lo:[0,1] neg_hi:[0,1]
	v_fmac_f16_e32 v1, 0x3b9c, v53
	v_fmac_f16_e32 v76, 0x34f2, v40
	v_add_f16_e32 v81, v55, v45
	v_pk_fma_f16 v84, 0x34f2, v41, v42 op_sel_hi:[0,1,1]
	v_pk_fma_f16 v83, 0x34f2, v41, v39 op_sel_hi:[0,1,1]
	v_fmac_f16_e32 v1, 0x38b4, v52
	v_mul_f16_e32 v39, 0x38b4, v76
	v_add_f16_e32 v54, v28, v12
	v_mul_f16_e32 v41, 0x34f2, v84
	v_lshrrev_b32_e32 v42, 16, v83
	v_mul_f16_e32 v43, 0x34f2, v83
	v_lshrrev_b32_e32 v45, 16, v84
	v_fmac_f16_e32 v1, 0x34f2, v40
	v_mul_f16_e32 v40, 0x3a79, v81
	v_fmac_f16_e32 v39, 0x3a79, v78
	v_fmac_f16_e32 v41, 0x3b9c, v42
	v_fma_f16 v42, v45, 0x3b9c, -v43
	v_add_f16_e32 v47, v48, v44
	v_fma_f16 v40, v1, 0x38b4, -v40
	v_add_f16_e32 v43, v49, v39
	v_sub_f16_e32 v44, v48, v44
	v_add_f16_e32 v53, v33, v42
	v_sub_f16_e32 v48, v49, v39
	;; [unrolled: 2-line block ×3, first 2 shown]
	v_sub_f16_e32 v42, v12, v13
	v_sub_f16_e32 v54, v35, v14
	v_add_f16_e32 v45, v13, v14
	v_add_f16_e32 v50, v46, v40
	v_sub_f16_e32 v40, v46, v40
	s_wait_loadcnt 0x1
	v_pk_add_f16 v46, v32, v38 neg_lo:[0,1] neg_hi:[0,1]
	v_add_f16_e32 v42, v42, v54
	v_pk_add_f16 v54, v37, v34 neg_lo:[0,1] neg_hi:[0,1]
	v_fma_f16 v45, -0.5, v45, v28
	v_sub_f16_e32 v55, v36, v60
	v_add_f16_e32 v56, v12, v35
	v_pk_add_f16 v58, v38, v34 neg_lo:[0,1] neg_hi:[0,1]
	v_pk_add_f16 v46, v46, v54
	v_add_f16_e32 v52, v51, v41
	v_sub_f16_e32 v41, v51, v41
	v_fmamk_f16 v49, v55, 0x3b9c, v45
	v_sub_f16_e32 v51, v57, v59
	v_fmac_f16_e32 v45, 0xbb9c, v55
	v_fmac_f16_e32 v28, -0.5, v56
	v_sub_f16_e32 v56, v13, v12
	v_sub_f16_e32 v54, v14, v35
	v_add_f16_e32 v65, v38, v34
	v_pk_add_f16 v66, v32, v37 neg_lo:[0,1] neg_hi:[0,1]
	v_bfi_b32 v46, 0xffff, v46, v58
	v_fmac_f16_e32 v49, 0x38b4, v51
	v_fmac_f16_e32 v45, 0xb8b4, v51
	v_add_f16_e32 v54, v56, v54
	v_add_f16_e32 v56, v31, v32
	v_fma_f16 v65, -0.5, v65, v31
	v_lshrrev_b32_e32 v68, 16, v66
	v_pk_mul_f16 v46, 0x38b434f2, v46
	v_fmac_f16_e32 v49, 0x34f2, v42
	v_fmac_f16_e32 v45, 0x34f2, v42
	v_fmamk_f16 v42, v51, 0xbb9c, v28
	v_fmac_f16_e32 v28, 0x3b9c, v51
	v_add_f16_e32 v51, v56, v38
	v_fmamk_f16 v56, v68, 0x3b9c, v65
	v_lshrrev_b32_e32 v69, 16, v46
	v_fmac_f16_e32 v42, 0x38b4, v55
	v_fmac_f16_e32 v28, 0xb8b4, v55
	v_lshrrev_b32_e32 v89, 16, v38
	v_lshrrev_b32_e32 v86, 16, v34
	v_add_f16_e32 v55, v69, v56
	v_add_f16_e32 v51, v51, v34
	v_lshrrev_b32_e32 v91, 16, v31
	v_lshrrev_b32_e32 v92, 16, v32
	v_add_f16_e32 v56, v89, v86
	v_add_f16_e32 v90, v46, v55
	v_lshrrev_b32_e32 v87, 16, v37
	v_pk_add_f16 v55, v32, v37
	v_add_f16_e32 v51, v51, v37
	v_fma_f16 v85, -0.5, v56, v91
	v_pk_add_f16 v32, v38, v32 neg_lo:[0,1] neg_hi:[0,1]
	v_sub_f16_e32 v38, v92, v89
	v_sub_f16_e32 v56, v87, v86
	v_pk_add_f16 v34, v34, v37 neg_lo:[0,1] neg_hi:[0,1]
	v_pk_fma_f16 v31, v55, 0.5, v31 op_sel_hi:[1,0,1] neg_lo:[1,0,0] neg_hi:[1,0,0]
	v_pk_mul_f16 v37, 0x3b9c, v58 op_sel_hi:[0,1]
	v_pk_mul_f16 v55, 0x38b4, v66 op_sel_hi:[0,1]
	v_add_f16_e32 v38, v38, v56
	v_fmamk_f16 v88, v66, 0xbb9c, v85
	v_fmac_f16_e32 v85, 0x3b9c, v66
	v_pk_add_f16 v56, v31, v37 op_sel:[0,1] op_sel_hi:[1,0] neg_lo:[0,1] neg_hi:[0,1]
	v_pk_add_f16 v31, v37, v31 op_sel:[1,0] op_sel_hi:[0,1]
	v_pk_add_f16 v32, v32, v34
	v_fmac_f16_e32 v65, 0xbb9c, v68
	v_fmac_f16_e32 v88, 0xb8b4, v58
	v_pk_add_f16 v34, v55, v56 op_sel:[1,0] op_sel_hi:[0,1]
	v_pk_add_f16 v31, v31, v55 op_sel:[0,1] op_sel_hi:[1,0] neg_lo:[0,1] neg_hi:[0,1]
	v_fmac_f16_e32 v85, 0x38b4, v58
	v_fmac_f16_e32 v42, 0x34f2, v54
	;; [unrolled: 1-line block ×3, first 2 shown]
	v_pk_fma_f16 v95, 0x34f2, v32, v34 op_sel_hi:[0,1,1]
	v_pk_fma_f16 v94, 0x34f2, v32, v31 op_sel_hi:[0,1,1]
	v_sub_f16_e32 v54, v65, v69
	v_fmac_f16_e32 v88, 0x34f2, v38
	v_fmac_f16_e32 v85, 0x34f2, v38
	v_mul_f16_e32 v34, 0x34f2, v95
	v_lshrrev_b32_e32 v38, 16, v94
	v_add_f16_e32 v93, v46, v54
	v_mul_f16_e32 v46, 0x34f2, v94
	v_lshrrev_b32_e32 v54, 16, v95
	v_add_f16_e32 v39, v39, v14
	v_fmac_f16_e32 v34, 0x3b9c, v38
	v_mul_f16_e32 v37, 0x38b4, v88
	v_add_f16_e32 v55, v3, v4
	v_fma_f16 v38, v54, 0x3b9c, -v46
	v_add_f16_e32 v39, v39, v35
	v_add_f16_e32 v58, v42, v34
	v_sub_f16_e32 v34, v42, v34
	v_add_f16_e32 v42, v6, v11
	v_fmac_f16_e32 v37, 0x3a79, v90
	v_mul_f16_e32 v31, 0x3a79, v93
	v_fma_f16 v54, -0.5, v55, v30
	v_sub_f16_e32 v55, v5, v10
	v_add_f16_e32 v65, v28, v38
	v_sub_f16_e32 v69, v28, v38
	v_fma_f16 v42, -0.5, v42, v30
	v_perm_b32 v30, v24, v30, 0x5040100
	v_perm_b32 v38, v27, v6, 0x5040100
	v_add_f16_e32 v32, v39, v51
	v_fma_f16 v31, v85, 0x38b4, -v31
	v_add_f16_e32 v56, v49, v37
	v_sub_f16_e32 v51, v39, v51
	v_sub_f16_e32 v49, v49, v37
	v_fmamk_f16 v39, v55, 0x3b9c, v54
	v_sub_f16_e32 v37, v8, v9
	v_sub_f16_e32 v66, v6, v3
	;; [unrolled: 1-line block ×3, first 2 shown]
	v_fmac_f16_e32 v54, 0xbb9c, v55
	v_pk_add_f16 v30, v30, v38
	s_wait_loadcnt 0x0
	v_perm_b32 v38, v29, v3, 0x5040100
	v_add_f16_e32 v46, v45, v31
	v_fmac_f16_e32 v39, 0x38b4, v37
	v_add_f16_e32 v28, v66, v68
	v_sub_f16_e32 v45, v45, v31
	v_fmac_f16_e32 v54, 0xb8b4, v37
	v_fmamk_f16 v31, v37, 0xbb9c, v42
	v_sub_f16_e32 v66, v3, v6
	v_sub_f16_e32 v68, v4, v11
	v_fmac_f16_e32 v42, 0x3b9c, v37
	v_pk_add_f16 v30, v30, v38
	v_perm_b32 v37, v25, v4, 0x5040100
	v_fmac_f16_e32 v31, 0x38b4, v55
	v_add_f16_e32 v38, v66, v68
	v_add_f16_e32 v66, v29, v25
	v_pk_add_f16 v68, v27, v26 neg_lo:[0,1] neg_hi:[0,1]
	v_fmac_f16_e32 v42, 0xb8b4, v55
	v_pk_add_f16 v30, v30, v37
	v_perm_b32 v37, v26, v11, 0x5040100
	v_fmac_f16_e32 v39, 0x34f2, v28
	v_fma_f16 v55, -0.5, v66, v24
	v_lshrrev_b32_e32 v66, 16, v68
	v_fmac_f16_e32 v54, 0x34f2, v28
	v_fmac_f16_e32 v31, 0x34f2, v38
	;; [unrolled: 1-line block ×3, first 2 shown]
	v_pk_add_f16 v28, v30, v37
	v_pk_add_f16 v37, v27, v29 neg_lo:[0,1] neg_hi:[0,1]
	v_pk_add_f16 v38, v26, v25 neg_lo:[0,1] neg_hi:[0,1]
	v_lshrrev_b32_e32 v98, 16, v29
	v_lshrrev_b32_e32 v97, 16, v25
	v_fmamk_f16 v30, v66, 0x3b9c, v55
	v_lshrrev_b32_e32 v99, 16, v27
	v_lshrrev_b32_e32 v96, 16, v26
	v_pk_add_f16 v71, v29, v25 neg_lo:[0,1] neg_hi:[0,1]
	v_pk_add_f16 v37, v37, v38
	v_fmac_f16_e32 v55, 0xbb9c, v66
	v_pk_add_f16 v66, v27, v26
	v_pk_add_f16 v27, v29, v27 neg_lo:[0,1] neg_hi:[0,1]
	v_lshrrev_b32_e32 v100, 16, v24
	v_add_f16_e32 v29, v98, v97
	v_sub_f16_e32 v38, v99, v98
	v_sub_f16_e32 v74, v96, v97
	v_pk_fma_f16 v24, v66, 0.5, v24 op_sel_hi:[1,0,1] neg_lo:[1,0,0] neg_hi:[1,0,0]
	v_pk_mul_f16 v66, 0x3b9c, v71 op_sel_hi:[0,1]
	v_bfi_b32 v37, 0xffff, v37, v71
	v_fma_f16 v101, -0.5, v29, v100
	v_pk_add_f16 v25, v25, v26 neg_lo:[0,1] neg_hi:[0,1]
	v_add_f16_e32 v26, v38, v74
	v_pk_add_f16 v29, v24, v66 op_sel:[0,1] op_sel_hi:[1,0] neg_lo:[0,1] neg_hi:[0,1]
	v_pk_mul_f16 v37, 0x38b434f2, v37
	v_pk_mul_f16 v38, 0x38b4, v68 op_sel_hi:[0,1]
	v_pk_add_f16 v24, v66, v24 op_sel:[1,0] op_sel_hi:[0,1]
	v_fmamk_f16 v102, v68, 0xbb9c, v101
	v_pk_add_f16 v25, v27, v25
	v_lshrrev_b32_e32 v27, 16, v37
	v_pk_add_f16 v29, v38, v29 op_sel:[1,0] op_sel_hi:[0,1]
	v_pk_add_f16 v24, v24, v38 op_sel:[0,1] op_sel_hi:[1,0] neg_lo:[0,1] neg_hi:[0,1]
	v_fmac_f16_e32 v101, 0x3b9c, v68
	v_fmac_f16_e32 v102, 0xb8b4, v71
	v_add_f16_e32 v30, v27, v30
	v_pk_fma_f16 v105, 0x34f2, v25, v29 op_sel_hi:[0,1,1]
	v_pk_fma_f16 v104, 0x34f2, v25, v24 op_sel_hi:[0,1,1]
	v_sub_f16_e32 v24, v55, v27
	v_fmac_f16_e32 v102, 0x34f2, v26
	v_fmac_f16_e32 v101, 0x38b4, v71
	v_mul_f16_e32 v25, 0x34f2, v105
	v_lshrrev_b32_e32 v27, 16, v104
	v_add_f16_e32 v107, v37, v30
	v_add_f16_e32 v103, v37, v24
	v_fmac_f16_e32 v101, 0x34f2, v26
	v_mul_f16_e32 v24, 0x38b4, v102
	v_mul_f16_e32 v26, 0x34f2, v104
	v_lshrrev_b32_e32 v29, 16, v105
	v_lshrrev_b32_e32 v30, 16, v28
	v_mul_u32_u24_e32 v7, 0x1e0, v7
	v_fmac_f16_e32 v25, 0x3b9c, v27
	v_fmac_f16_e32 v24, 0x3a79, v107
	v_fma_f16 v26, v29, 0x3b9c, -v26
	v_add_f16_e32 v27, v28, v30
	v_sub_f16_e32 v37, v28, v30
	v_lshlrev_b32_e32 v28, 1, v7
	v_add_f16_e32 v30, v39, v24
	v_sub_f16_e32 v38, v39, v24
	v_add_f16_e32 v24, v31, v25
	v_mul_f16_e32 v55, 0x3a79, v103
	v_sub_f16_e32 v39, v31, v25
	v_add_f16_e32 v25, v42, v26
	v_sub_f16_e32 v29, v42, v26
	v_pack_b32_f16 v26, v52, v53
	v_mul_u32_u24_e32 v42, 10, v20
	v_add_nc_u32_e32 v52, 0, v28
	v_fma_f16 v7, v101, 0x38b4, -v55
	v_pack_b32_f16 v43, v47, v43
	v_pack_b32_f16 v41, v48, v41
	v_pack_b32_f16 v33, v33, v40
	v_lshl_add_u32 v106, v42, 1, v52
	v_pack_b32_f16 v42, v50, v44
	v_mul_i32_i24_e32 v44, 10, v21
	s_load_b64 s[2:3], s[2:3], 0x0
	v_add_f16_e32 v31, v54, v7
	v_sub_f16_e32 v40, v54, v7
	ds_store_2addr_b32 v106, v43, v26 offset1:1
	ds_store_2addr_b32 v106, v42, v41 offset0:2 offset1:3
	ds_store_b32 v106, v33 offset:16
	v_lshl_add_u32 v7, v44, 1, v52
	v_pack_b32_f16 v26, v58, v65
	v_mul_i32_i24_e32 v33, 10, v22
	v_pack_b32_f16 v32, v32, v56
	v_pack_b32_f16 v34, v49, v34
	;; [unrolled: 1-line block ×4, first 2 shown]
	v_lshl_add_u32 v108, v33, 1, v52
	v_pack_b32_f16 v24, v24, v25
	v_pack_b32_f16 v25, v27, v30
	ds_store_2addr_b32 v7, v32, v26 offset1:1
	ds_store_2addr_b32 v7, v41, v34 offset0:2 offset1:3
	ds_store_b32 v7, v42 offset:16
	v_lshlrev_b32_e32 v26, 1, v20
	v_pack_b32_f16 v27, v38, v39
	v_pack_b32_f16 v30, v31, v37
	;; [unrolled: 1-line block ×3, first 2 shown]
	ds_store_2addr_b32 v108, v25, v24 offset1:1
	ds_store_2addr_b32 v108, v30, v27 offset0:2 offset1:3
	ds_store_b32 v108, v33 offset:16
	v_add_nc_u32_e32 v24, v52, v26
	v_add3_u32 v25, 0, v26, v28
	global_wb scope:SCOPE_SE
	s_wait_dscnt 0x0
	s_wait_kmcnt 0x0
	s_barrier_signal -1
	s_barrier_wait -1
	global_inv scope:SCOPE_SE
	ds_load_u16 v46, v24
	ds_load_u16 v65, v25 offset:120
	ds_load_u16 v43, v25 offset:152
	v_lshl_add_u32 v26, v21, 1, v52
	ds_load_u16 v44, v25 offset:392
	v_lshl_add_u32 v27, v22, 1, v52
	ds_load_u16 v66, v25 offset:720
	ds_load_u16 v49, v25 offset:752
	;; [unrolled: 1-line block ×14, first 2 shown]
	ds_load_u16 v41, v27
	ds_load_u16 v42, v26
	ds_load_u16 v55, v25 offset:904
	ds_load_u16 v58, v25 offset:872
	;; [unrolled: 1-line block ×4, first 2 shown]
	v_cmp_gt_u32_e64 s0, 12, v20
	v_lshlrev_b32_e32 v30, 1, v23
                                        ; implicit-def: $vgpr52
                                        ; implicit-def: $vgpr53
	s_delay_alu instid0(VALU_DEP_2)
	s_and_saveexec_b32 s1, s0
	s_cbranch_execz .LBB0_15
; %bb.14:
	s_delay_alu instid0(VALU_DEP_1)
	v_add3_u32 v31, 0, v30, v28
	ds_load_u16 v37, v25 offset:216
	ds_load_u16 v38, v25 offset:336
	;; [unrolled: 1-line block ×6, first 2 shown]
	ds_load_u16 v31, v31
	ds_load_u16 v53, v25 offset:936
.LBB0_15:
	s_wait_alu 0xfffe
	s_or_b32 exec_lo, exec_lo, s1
	v_add_f16_e32 v109, v75, v73
	v_add_f16_e32 v110, v63, v72
	;; [unrolled: 1-line block ×3, first 2 shown]
	v_sub_f16_e32 v64, v67, v64
	v_sub_f16_e32 v61, v61, v62
	;; [unrolled: 1-line block ×3, first 2 shown]
	v_fma_f16 v67, -0.5, v109, v63
	v_sub_f16_e32 v72, v75, v72
	v_add_f16_e32 v75, v110, v75
	v_fmac_f16_e32 v63, -0.5, v111
	v_sub_f16_e32 v109, v70, v73
	v_fmamk_f16 v110, v64, 0xbb9c, v67
	v_sub_f16_e32 v112, v73, v70
	v_add_f16_e32 v73, v75, v73
	v_add_f16_e32 v75, v80, v82
	v_fmamk_f16 v80, v61, 0x3b9c, v63
	v_fmac_f16_e32 v63, 0xbb9c, v61
	v_fmac_f16_e32 v67, 0x3b9c, v64
	v_add_f16_e32 v62, v62, v109
	v_fmac_f16_e32 v110, 0xb8b4, v61
	v_add_f16_e32 v70, v73, v70
	v_add_f16_e32 v72, v72, v112
	;; [unrolled: 1-line block ×3, first 2 shown]
	v_fmac_f16_e32 v80, 0xb8b4, v64
	v_fmac_f16_e32 v63, 0x38b4, v64
	;; [unrolled: 1-line block ×4, first 2 shown]
	v_mul_f16_e32 v61, 0x34f2, v72
	v_add_f16_e32 v2, v73, v2
	v_mul_f16_e32 v64, 0xb8b4, v78
	v_pack_b32_f16 v63, v63, v80
	v_fmac_f16_e32 v67, 0x34f2, v62
	v_pk_mul_f16 v62, 0x34f23b9c, v84
	v_add_f16_e32 v2, v2, v79
	v_fmac_f16_e32 v64, 0x3a79, v76
	v_pk_add_f16 v61, v61, v63 op_sel_hi:[0,1]
	v_add_f16_e32 v76, v15, v36
	v_pk_fma_f16 v62, 0x34f2bb9c, v83, v62 op_sel:[0,0,1] op_sel_hi:[1,1,0] neg_lo:[0,0,1] neg_hi:[0,0,1]
	v_add_f16_e32 v63, v70, v2
	v_add_f16_e32 v72, v57, v59
	;; [unrolled: 1-line block ×3, first 2 shown]
	v_sub_f16_e32 v12, v12, v35
	v_bfi_b32 v35, 0xffff, v110, v61
	v_bfi_b32 v64, 0xffff, v64, v62
	v_add_f16_e32 v76, v76, v57
	v_sub_f16_e32 v2, v70, v2
	v_add_f16_e32 v70, v36, v60
	v_fma_f16 v72, -0.5, v72, v15
	v_sub_f16_e32 v13, v13, v14
	v_pk_add_f16 v64, v35, v64 neg_lo:[0,1] neg_hi:[0,1]
	v_add_f16_e32 v35, v76, v59
	v_fmac_f16_e32 v15, -0.5, v70
	v_fmamk_f16 v78, v12, 0xbb9c, v72
	v_sub_f16_e32 v14, v36, v57
	v_sub_f16_e32 v79, v60, v59
	v_add_f16_e32 v35, v35, v60
	v_fmac_f16_e32 v72, 0x3b9c, v12
	v_sub_f16_e32 v36, v57, v36
	v_sub_f16_e32 v57, v59, v60
	v_add_f16_e32 v59, v91, v92
	v_fmamk_f16 v60, v13, 0x3b9c, v15
	v_fmac_f16_e32 v15, 0xbb9c, v13
	v_fmac_f16_e32 v78, 0xb8b4, v13
	v_add_f16_e32 v14, v14, v79
	v_fmac_f16_e32 v72, 0x38b4, v13
	v_add_f16_e32 v13, v36, v57
	v_add_f16_e32 v36, v59, v89
	v_fmac_f16_e32 v60, 0xb8b4, v12
	v_fmac_f16_e32 v15, 0x38b4, v12
	;; [unrolled: 1-line block ×4, first 2 shown]
	v_mul_f16_e32 v12, 0x34f2, v13
	v_add_f16_e32 v13, v36, v86
	v_mul_f16_e32 v14, 0xb8b4, v90
	v_pack_b32_f16 v15, v15, v60
	v_pk_mul_f16 v36, 0x34f23b9c, v95
	v_mul_f16_e32 v1, 0x3a79, v1
	v_mul_f16_e32 v57, 0x3a79, v85
	v_fmac_f16_e32 v14, 0x3a79, v88
	v_pk_add_f16 v12, v12, v15 op_sel_hi:[0,1]
	v_pk_fma_f16 v15, 0x34f2bb9c, v94, v36 op_sel:[0,0,1] op_sel_hi:[1,1,0] neg_lo:[0,0,1] neg_hi:[0,0,1]
	v_fma_f16 v1, v81, 0xb8b4, -v1
	v_fma_f16 v36, v93, 0xb8b4, -v57
	v_add_f16_e32 v57, v0, v5
	v_add_f16_e32 v60, v78, v14
	v_bfi_b32 v70, 0xffff, v78, v12
	v_bfi_b32 v14, 0xffff, v14, v15
	v_add_f16_e32 v77, v67, v1
	v_sub_f16_e32 v1, v67, v1
	v_add_f16_e32 v13, v13, v87
	v_add_f16_e32 v57, v57, v8
	;; [unrolled: 1-line block ×3, first 2 shown]
	v_sub_f16_e32 v6, v6, v11
	v_pk_add_f16 v11, v70, v14 neg_lo:[0,1] neg_hi:[0,1]
	v_add_f16_e32 v14, v5, v10
	v_add_f16_e32 v59, v35, v13
	v_sub_f16_e32 v13, v35, v13
	v_add_f16_e32 v35, v57, v9
	v_fma_f16 v57, -0.5, v67, v0
	v_sub_f16_e32 v3, v3, v4
	v_fmac_f16_e32 v0, -0.5, v14
	v_sub_f16_e32 v4, v5, v8
	v_sub_f16_e32 v14, v10, v9
	;; [unrolled: 1-line block ×4, first 2 shown]
	v_fmamk_f16 v9, v3, 0x3b9c, v0
	v_fmac_f16_e32 v0, 0xbb9c, v3
	v_fmamk_f16 v70, v6, 0xbb9c, v57
	v_pk_add_f16 v75, v61, v62
	v_add_f16_e32 v5, v5, v8
	v_fmac_f16_e32 v9, 0xb8b4, v6
	v_fmac_f16_e32 v0, 0x38b4, v6
	v_add_f16_e32 v8, v100, v99
	v_sub_f16_e32 v61, v61, v62
	v_pk_add_f16 v62, v12, v15
	v_sub_f16_e32 v12, v12, v15
	v_add_f16_e32 v15, v35, v10
	v_fmac_f16_e32 v70, 0xb8b4, v3
	v_add_f16_e32 v4, v4, v14
	v_mul_f16_e32 v5, 0x34f2, v5
	v_mul_f16_e32 v10, 0xb8b4, v107
	v_pack_b32_f16 v0, v0, v9
	v_pk_mul_f16 v9, 0x34f23b9c, v105
	v_fmac_f16_e32 v57, 0x3b9c, v6
	v_add_f16_e32 v8, v8, v98
	v_fmac_f16_e32 v70, 0x34f2, v4
	v_fmac_f16_e32 v10, 0x3a79, v102
	v_pk_add_f16 v0, v5, v0 op_sel_hi:[0,1]
	v_pk_fma_f16 v5, 0x34f2bb9c, v104, v9 op_sel:[0,0,1] op_sel_hi:[1,1,0] neg_lo:[0,0,1] neg_hi:[0,0,1]
	v_fmac_f16_e32 v57, 0x38b4, v3
	v_mul_f16_e32 v3, 0x3a79, v101
	v_add_f16_e32 v6, v8, v97
	v_bfi_b32 v8, 0xffff, v70, v0
	v_bfi_b32 v9, 0xffff, v10, v5
	v_fmac_f16_e32 v57, 0x34f2, v4
	v_fma_f16 v3, v103, 0xb8b4, -v3
	v_add_f16_e32 v6, v6, v96
	v_add_f16_e32 v76, v72, v36
	v_sub_f16_e32 v4, v72, v36
	v_pk_add_f16 v8, v8, v9
	v_add_f16_e32 v9, v0, v5
	v_add_f16_e32 v35, v57, v3
	v_pk_add_f16 v36, v0, v5 neg_lo:[0,1] neg_hi:[0,1]
	v_sub_f16_e32 v72, v57, v3
	v_alignbit_b32 v0, v75, v75, 16
	v_pack_b32_f16 v3, v63, v73
	v_pack_b32_f16 v2, v77, v2
	;; [unrolled: 1-line block ×3, first 2 shown]
	v_add_f16_e32 v14, v15, v6
	v_sub_f16_e32 v67, v15, v6
	v_sub_f16_e32 v70, v70, v10
	global_wb scope:SCOPE_SE
	s_wait_dscnt 0x0
	s_barrier_signal -1
	s_barrier_wait -1
	global_inv scope:SCOPE_SE
	ds_store_2addr_b32 v106, v3, v0 offset1:1
	ds_store_2addr_b32 v106, v2, v64 offset0:2 offset1:3
	ds_store_b32 v106, v1 offset:16
	v_alignbit_b32 v0, v62, v62, 16
	v_pack_b32_f16 v1, v59, v60
	v_pack_b32_f16 v2, v76, v13
	;; [unrolled: 1-line block ×3, first 2 shown]
	v_alignbit_b32 v4, v9, v8, 16
	v_pack_b32_f16 v5, v14, v8
	v_pack_b32_f16 v6, v35, v67
	v_bfi_b32 v8, 0xffff, v70, v36
	v_pack_b32_f16 v9, v36, v72
	ds_store_2addr_b32 v7, v1, v0 offset1:1
	ds_store_2addr_b32 v7, v2, v11 offset0:2 offset1:3
	ds_store_b32 v7, v3 offset:16
	ds_store_2addr_b32 v108, v5, v4 offset1:1
	ds_store_b32 v108, v6 offset:8
	ds_store_2addr_b32 v108, v8, v9 offset0:3 offset1:4
	global_wb scope:SCOPE_SE
	s_wait_dscnt 0x0
	s_barrier_signal -1
	s_barrier_wait -1
	global_inv scope:SCOPE_SE
	ds_load_u16 v57, v24
	ds_load_u16 v92, v25 offset:120
	ds_load_u16 v75, v25 offset:152
	;; [unrolled: 1-line block ×8, first 2 shown]
	ds_load_u16 v59, v27
	ds_load_u16 v94, v25 offset:360
	ds_load_u16 v78, v25 offset:304
	;; [unrolled: 1-line block ×10, first 2 shown]
	ds_load_u16 v60, v26
	ds_load_u16 v87, v25 offset:904
	ds_load_u16 v97, v25 offset:840
	;; [unrolled: 1-line block ×3, first 2 shown]
                                        ; implicit-def: $vgpr83
                                        ; implicit-def: $vgpr85
	s_and_saveexec_b32 s1, s0
	s_cbranch_execz .LBB0_17
; %bb.16:
	ds_load_u16 v36, v25 offset:576
	v_add3_u32 v0, 0, v30, v28
	ds_load_u16 v35, v0
	ds_load_u16 v83, v25 offset:816
	ds_load_u16 v67, v25 offset:216
	ds_load_u16 v70, v25 offset:336
	s_wait_dscnt 0x4
	ds_load_u16_d16_hi v36, v25 offset:456
	ds_load_u16 v72, v25 offset:696
	ds_load_u16 v85, v25 offset:936
.LBB0_17:
	s_wait_alu 0xfffe
	s_or_b32 exec_lo, exec_lo, s1
	v_dual_mov_b32 v1, 0 :: v_dual_add_nc_u32 v0, -10, v20
	v_cmp_gt_u32_e64 s1, 10, v20
	v_and_b32_e32 v2, 0xff, v21
	v_and_b32_e32 v3, 0xff, v22
	s_wait_alu 0xf1ff
	s_delay_alu instid0(VALU_DEP_3) | instskip(NEXT) | instid1(VALU_DEP_3)
	v_cndmask_b32_e64 v73, v0, v20, s1
	v_mul_lo_u16 v2, 0xcd, v2
	s_delay_alu instid0(VALU_DEP_2) | instskip(NEXT) | instid1(VALU_DEP_2)
	v_mul_i32_i24_e32 v0, 7, v73
	v_lshrrev_b16 v89, 11, v2
	s_delay_alu instid0(VALU_DEP_2) | instskip(NEXT) | instid1(VALU_DEP_2)
	v_lshlrev_b64_e32 v[0:1], 2, v[0:1]
	v_mul_lo_u16 v2, v89, 10
	v_mul_lo_u16 v89, 0x50, v89
	s_delay_alu instid0(VALU_DEP_2) | instskip(NEXT) | instid1(VALU_DEP_4)
	v_sub_nc_u16 v91, v21, v2
	v_add_co_u32 v0, s1, s8, v0
	s_wait_alu 0xf1ff
	v_add_co_ci_u32_e64 v1, s1, s9, v1, s1
	v_cmp_lt_u32_e64 s1, 9, v20
	v_or_b32_e32 v89, v89, v91
	s_clause 0x1
	global_load_b128 v[4:7], v[0:1], off
	global_load_b96 v[100:102], v[0:1], off offset:16
	v_mul_lo_u16 v0, 0xcd, v3
	v_and_b32_e32 v1, 0xff, v23
	s_wait_alu 0xf1ff
	v_cndmask_b32_e64 v112, 0, 0x50, s1
	v_and_b32_e32 v89, 0xff, v89
	v_lshrrev_b16 v90, 11, v0
	v_mul_lo_u16 v0, 0xcd, v1
	s_delay_alu instid0(VALU_DEP_4) | instskip(NEXT) | instid1(VALU_DEP_4)
	v_or_b32_e32 v73, v112, v73
	v_lshlrev_b32_e32 v89, 1, v89
	s_wait_dscnt 0x2
	v_lshrrev_b32_e32 v112, 16, v36
	v_mul_lo_u16 v1, v90, 10
	v_lshrrev_b16 v98, 11, v0
	v_mul_lo_u16 v0, v91, 7
	v_and_b32_e32 v90, 0xffff, v90
	v_lshlrev_b32_e32 v91, 1, v73
	v_sub_nc_u16 v1, v22, v1
	v_mul_lo_u16 v2, v98, 10
	v_and_b32_e32 v0, 0xff, v0
	v_mul_u32_u24_e32 v90, 0x50, v90
	v_and_b32_e32 v73, 0xffff, v98
	v_and_b32_e32 v99, 0xff, v1
	v_sub_nc_u16 v1, v23, v2
	v_lshlrev_b32_e32 v0, 2, v0
	v_add3_u32 v91, 0, v91, v28
	s_delay_alu instid0(VALU_DEP_4) | instskip(NEXT) | instid1(VALU_DEP_4)
	v_mul_u32_u24_e32 v2, 7, v99
	v_and_b32_e32 v64, 0xff, v1
	global_load_b128 v[12:15], v0, s[8:9]
	v_or_b32_e32 v90, v90, v99
	v_lshlrev_b32_e32 v1, 2, v2
	v_mul_u32_u24_e32 v2, 7, v64
	s_clause 0x1
	global_load_b96 v[103:105], v0, s[8:9] offset:16
	global_load_b128 v[8:11], v1, s[8:9]
	v_lshlrev_b32_e32 v98, 1, v90
	v_lshlrev_b32_e32 v109, 2, v2
	s_clause 0x2
	global_load_b96 v[106:108], v1, s[8:9] offset:16
	global_load_b128 v[0:3], v109, s[8:9]
	global_load_b96 v[109:111], v109, s[8:9] offset:16
	v_add3_u32 v90, 0, v89, v28
	v_add3_u32 v89, 0, v98, v28
	global_wb scope:SCOPE_SE
	s_wait_loadcnt_dscnt 0x0
	s_barrier_signal -1
	s_barrier_wait -1
	global_inv scope:SCOPE_SE
	v_lshrrev_b32_e32 v98, 16, v4
	v_lshrrev_b32_e32 v113, 16, v5
	;; [unrolled: 1-line block ×7, first 2 shown]
	v_mul_f16_e32 v118, v92, v98
	v_mul_f16_e32 v119, v65, v98
	;; [unrolled: 1-line block ×13, first 2 shown]
	v_fma_f16 v118, v65, v4, -v118
	v_fmac_f16_e32 v119, v92, v4
	v_fma_f16 v92, v69, v5, -v120
	v_fmac_f16_e32 v98, v95, v5
	;; [unrolled: 2-line block ×3, first 2 shown]
	v_fma_f16 v6, v34, v7, -v121
	v_fma_f16 v68, v71, v100, -v122
	v_fmac_f16_e32 v115, v96, v100
	v_fma_f16 v66, v66, v101, -v123
	v_fmac_f16_e32 v116, v93, v101
	;; [unrolled: 2-line block ×3, first 2 shown]
	v_lshrrev_b32_e32 v74, 16, v12
	v_lshrrev_b32_e32 v93, 16, v13
	;; [unrolled: 1-line block ×20, first 2 shown]
	v_sub_f16_e64 v129, v46, v6
	v_sub_f16_e32 v6, v92, v66
	v_sub_f16_e32 v69, v98, v116
	;; [unrolled: 1-line block ×4, first 2 shown]
	v_sub_f16_e64 v130, v95, v71
	v_sub_f16_e32 v117, v114, v117
	v_mul_f16_e64 v131, v86, v96
	v_mul_f16_e32 v96, v54, v96
	v_mul_f16_e64 v132, v82, v97
	v_mul_f16_e32 v97, v49, v97
	;; [unrolled: 2-line block ×8, first 2 shown]
	v_mul_f16_e32 v93, v76, v94
	v_mul_f16_e32 v94, v44, v94
	v_mul_f16_e64 v139, v61, v4
	v_mul_f16_e64 v140, v79, v101
	v_mul_f16_e32 v101, v47, v101
	v_mul_f16_e64 v141, v78, v102
	v_mul_f16_e32 v68, v45, v102
	v_mul_f16_e32 v102, v80, v113
	;; [unrolled: 1-line block ×3, first 2 shown]
	v_mul_f16_e64 v142, v62, v5
	v_mul_f16_e64 v143, v67, v123
	v_mul_f16_e32 v123, v37, v123
	v_mul_f16_e64 v144, v70, v124
	v_mul_f16_e32 v66, v38, v124
	v_mul_f16_e32 v124, v112, v125
	;; [unrolled: 1-line block ×3, first 2 shown]
	v_mul_f16_e64 v145, v72, v126
	v_mul_f16_e32 v126, v40, v126
	v_mul_f16_e64 v146, v83, v127
	v_mul_f16_e64 v147, v85, v128
	;; [unrolled: 1-line block ×3, first 2 shown]
	v_fma_f16 v148, v46, 2.0, -v129
	v_fma_f16 v92, v92, 2.0, -v6
	;; [unrolled: 1-line block ×6, first 2 shown]
	v_sub_f16_e64 v119, v129, v69
	v_sub_f16_e32 v117, v116, v117
	v_fma_f16 v54, v54, v103, -v131
	v_fmac_f16_e32 v96, v86, v103
	v_fma_f16 v49, v49, v104, -v132
	v_fmac_f16_e32 v97, v82, v104
	;; [unrolled: 2-line block ×12, first 2 shown]
	v_fma_f16 v8, v33, v15, -v139
	v_fma_f16 v14, v32, v11, -v142
	v_mul_f16_e32 v127, v52, v127
	v_fma_f16 v75, v37, v0, -v143
	v_fmac_f16_e32 v123, v67, v0
	v_fma_f16 v47, v38, v1, -v144
	v_fmac_f16_e32 v66, v70, v1
	;; [unrolled: 2-line block ×4, first 2 shown]
	v_fma_f16 v0, v52, v110, -v146
	v_fma_f16 v52, v53, v111, -v147
	v_fmac_f16_e64 v128, v85, v111
	v_sub_f16_e64 v53, v148, v92
	v_fma_f16 v70, v129, 2.0, -v119
	v_sub_f16_e32 v2, v118, v95
	v_fma_f16 v72, v116, 2.0, -v117
	v_sub_f16_e32 v79, v42, v8
	v_sub_f16_e32 v12, v48, v49
	;; [unrolled: 1-line block ×14, first 2 shown]
	v_add_f16_e64 v130, v115, v130
	v_fmac_f16_e32 v127, v83, v110
	v_sub_f16_e32 v40, v46, v114
	v_sub_f16_e32 v82, v75, v38
	;; [unrolled: 1-line block ×4, first 2 shown]
	v_sub_f16_e64 v84, v125, v128
	v_fma_f16 v85, v148, 2.0, -v53
	v_fma_f16 v86, v118, 2.0, -v2
	v_mul_f16_e32 v14, 0x39a8, v72
	v_fmamk_f16 v87, v72, 0xb9a8, v70
	v_fma_f16 v72, v42, 2.0, -v79
	v_fma_f16 v48, v48, 2.0, -v12
	;; [unrolled: 1-line block ×6, first 2 shown]
	v_sub_f16_e32 v93, v79, v39
	v_sub_f16_e32 v94, v49, v76
	v_add_f16_e32 v95, v54, v58
	v_fma_f16 v96, v41, 2.0, -v80
	v_fma_f16 v58, v45, 2.0, -v8
	;; [unrolled: 1-line block ×6, first 2 shown]
	v_sub_f16_e32 v101, v80, v37
	v_sub_f16_e32 v81, v51, v81
	v_fmamk_f16 v78, v117, 0x39a8, v119
	v_fma_f16 v77, v115, 2.0, -v130
	v_sub_f16_e32 v88, v53, v40
	v_add_f16_e32 v55, v56, v55
	v_fma_f16 v50, v123, 2.0, -v83
	v_fma_f16 v102, v125, 2.0, -v84
	v_sub_f16_e32 v84, v82, v84
	v_add_f16_e32 v103, v83, v52
	v_sub_f16_e32 v86, v85, v86
	v_sub_f16_e32 v105, v72, v48
	v_fma_f16 v79, v79, 2.0, -v93
	v_sub_f16_e32 v45, v92, v43
	v_fma_f16 v106, v49, 2.0, -v94
	v_mul_f16_e32 v41, 0x39a8, v94
	v_fmamk_f16 v94, v94, 0x39a8, v93
	v_sub_f16_e32 v108, v96, v58
	v_fma_f16 v80, v80, 2.0, -v101
	v_sub_f16_e32 v43, v97, v44
	v_sub_f16_e32 v58, v13, v100
	v_fma_f16 v100, v51, 2.0, -v81
	v_fmac_f16_e64 v78, 0xb9a8, v130
	v_mul_f16_e32 v38, 0x39a8, v77
	v_fma_f16 v76, v75, 2.0, -v82
	v_fma_f16 v67, v67, 2.0, -v52
	v_fmac_f16_e32 v87, 0xb9a8, v77
	v_fma_f16 v77, v53, 2.0, -v88
	v_sub_f16_e32 v75, v42, v74
	v_fma_f16 v107, v54, 2.0, -v95
	v_mul_f16_e32 v49, 0x39a8, v95
	v_fma_f16 v109, v56, 2.0, -v55
	v_mul_f16_e32 v44, 0x39a8, v81
	v_fmamk_f16 v81, v81, 0x39a8, v101
	v_sub_f16_e32 v53, v50, v102
	v_fma_f16 v56, v82, 2.0, -v84
	v_fma_f16 v82, v83, 2.0, -v103
	;; [unrolled: 1-line block ×5, first 2 shown]
	v_fmamk_f16 v102, v106, 0xb9a8, v79
	v_fmac_f16_e32 v94, 0xb9a8, v95
	v_fma_f16 v95, v96, 2.0, -v108
	v_fma_f16 v96, v97, 2.0, -v43
	v_fmamk_f16 v97, v100, 0xb9a8, v80
	v_fma_f16 v104, v119, 2.0, -v78
	v_lshrrev_b32_e32 v65, 16, v3
	v_mul_f16_e32 v9, 0x39a8, v117
	v_mul_f16_e64 v10, 0x39a8, v130
	v_sub_f16_e32 v0, v47, v0
	v_sub_f16_e32 v1, v66, v127
	v_mul_f16_e32 v48, 0x39a8, v55
	v_sub_f16_e32 v51, v76, v67
	v_mul_f16_e32 v52, 0x39a8, v84
	v_mul_f16_e32 v54, 0x39a8, v103
	v_fma_f16 v84, v70, 2.0, -v87
	v_mul_f16_e32 v72, 0x39a8, v106
	v_mul_f16_e32 v74, 0x39a8, v107
	v_sub_f16_e32 v103, v105, v75
	v_mul_f16_e32 v67, 0x39a8, v100
	v_mul_f16_e32 v70, 0x39a8, v109
	v_sub_f16_e32 v100, v108, v58
	v_fmac_f16_e32 v81, 0xb9a8, v55
	v_mul_f16_e32 v55, 0x39a8, v56
	v_mul_f16_e32 v56, 0x39a8, v82
	ds_store_b16 v91, v78 offset:140
	ds_store_b16 v91, v104 offset:60
	;; [unrolled: 1-line block ×5, first 2 shown]
	ds_store_b16 v91, v83
	ds_store_b16 v91, v77 offset:40
	ds_store_b16 v91, v84 offset:20
	v_sub_f16_e32 v77, v85, v92
	v_fmac_f16_e32 v102, 0xb9a8, v107
	v_sub_f16_e32 v83, v95, v96
	v_fmac_f16_e32 v97, 0xb9a8, v109
	v_fma_f16 v82, v93, 2.0, -v94
	v_fma_f16 v78, v105, 2.0, -v103
	;; [unrolled: 1-line block ×8, first 2 shown]
	ds_store_b16 v90, v94 offset:140
	ds_store_b16 v90, v82 offset:60
	;; [unrolled: 1-line block ×5, first 2 shown]
	ds_store_b16 v90, v85
	ds_store_b16 v90, v78 offset:40
	ds_store_b16 v90, v79 offset:20
	ds_store_b16 v89, v87
	ds_store_b16 v89, v80 offset:20
	ds_store_b16 v89, v84 offset:40
	;; [unrolled: 1-line block ×7, first 2 shown]
	s_and_saveexec_b32 s1, s0
	s_cbranch_execz .LBB0_19
; %bb.18:
	v_mul_f16_e32 v77, v36, v65
	v_fma_f16 v47, v47, 2.0, -v0
	v_mul_u32_u24_e32 v79, 0x50, v73
	v_fma_f16 v76, v76, 2.0, -v51
	s_delay_alu instid0(VALU_DEP_4) | instskip(NEXT) | instid1(VALU_DEP_3)
	v_fma_f16 v77, v29, v3, -v77
	v_or_b32_e32 v79, v79, v64
	s_delay_alu instid0(VALU_DEP_2) | instskip(NEXT) | instid1(VALU_DEP_2)
	v_sub_f16_e32 v77, v31, v77
	v_lshlrev_b32_e32 v79, 1, v79
	s_delay_alu instid0(VALU_DEP_2) | instskip(SKIP_1) | instid1(VALU_DEP_3)
	v_fma_f16 v31, v31, 2.0, -v77
	v_sub_f16_e32 v78, v77, v1
	v_add3_u32 v79, 0, v79, v28
	s_delay_alu instid0(VALU_DEP_3) | instskip(NEXT) | instid1(VALU_DEP_3)
	v_sub_f16_e32 v47, v31, v47
	v_fma_f16 v77, v77, 2.0, -v78
	v_add_f16_e32 v81, v78, v52
	s_delay_alu instid0(VALU_DEP_3) | instskip(NEXT) | instid1(VALU_DEP_3)
	v_fma_f16 v31, v31, 2.0, -v47
	v_sub_f16_e32 v80, v77, v55
	v_sub_f16_e32 v82, v47, v53
	s_delay_alu instid0(VALU_DEP_4) | instskip(NEXT) | instid1(VALU_DEP_4)
	v_sub_f16_e32 v81, v81, v54
	v_sub_f16_e32 v76, v31, v76
	s_delay_alu instid0(VALU_DEP_4) | instskip(NEXT) | instid1(VALU_DEP_4)
	v_sub_f16_e32 v80, v80, v56
	v_fma_f16 v47, v47, 2.0, -v82
	s_delay_alu instid0(VALU_DEP_4) | instskip(NEXT) | instid1(VALU_DEP_4)
	v_fma_f16 v78, v78, 2.0, -v81
	v_fma_f16 v31, v31, 2.0, -v76
	s_delay_alu instid0(VALU_DEP_4)
	v_fma_f16 v77, v77, 2.0, -v80
	ds_store_b16 v79, v31
	ds_store_b16 v79, v77 offset:20
	ds_store_b16 v79, v47 offset:40
	;; [unrolled: 1-line block ×7, first 2 shown]
.LBB0_19:
	s_wait_alu 0xfffe
	s_or_b32 exec_lo, exec_lo, s1
	v_mul_f16_e32 v31, v34, v99
	v_mul_f16_e32 v4, v33, v4
	v_mul_f16_e32 v5, v32, v5
	v_fma_f16 v32, v98, 2.0, -v69
	v_fma_f16 v33, v68, 2.0, -v37
	v_fmac_f16_e32 v31, v63, v7
	v_fmac_f16_e32 v4, v61, v15
	;; [unrolled: 1-line block ×3, first 2 shown]
	v_fma_f16 v15, v71, 2.0, -v39
	v_fma_f16 v7, v46, 2.0, -v40
	v_sub_f16_e32 v11, v57, v31
	v_sub_f16_e32 v4, v60, v4
	v_fma_f16 v31, v42, 2.0, -v75
	v_sub_f16_e32 v5, v59, v5
	global_wb scope:SCOPE_SE
	s_wait_dscnt 0x0
	v_fma_f16 v34, v57, 2.0, -v11
	v_fma_f16 v37, v60, 2.0, -v4
	v_add_f16_e32 v12, v4, v12
	v_add_f16_e32 v6, v11, v6
	v_fma_f16 v39, v59, 2.0, -v5
	v_sub_f16_e32 v32, v34, v32
	v_sub_f16_e32 v15, v37, v15
	v_fma_f16 v4, v4, 2.0, -v12
	v_add_f16_e32 v10, v6, v10
	v_fma_f16 v11, v11, 2.0, -v6
	v_fma_f16 v34, v34, 2.0, -v32
	v_add_f16_e32 v57, v32, v2
	v_fma_f16 v2, v37, 2.0, -v15
	v_add_f16_e32 v59, v9, v10
	v_sub_f16_e32 v38, v11, v38
	v_sub_f16_e32 v60, v34, v7
	;; [unrolled: 1-line block ×4, first 2 shown]
	v_add_f16_e32 v76, v15, v45
	v_add_f16_e32 v61, v14, v38
	v_fma_f16 v62, v32, 2.0, -v57
	v_add_f16_e32 v71, v72, v7
	v_add_f16_e32 v7, v5, v8
	v_fma_f16 v74, v2, 2.0, -v63
	v_sub_f16_e32 v2, v39, v33
	v_fma_f16 v72, v6, 2.0, -v59
	v_fma_f16 v75, v4, 2.0, -v71
	;; [unrolled: 1-line block ×3, first 2 shown]
	v_add_f16_e32 v5, v12, v49
	v_fma_f16 v6, v39, 2.0, -v2
	v_fma_f16 v8, v13, 2.0, -v58
	v_add_f16_e32 v10, v7, v48
	v_sub_f16_e32 v9, v4, v70
	v_add_f16_e32 v70, v41, v5
	v_add_f16_e32 v78, v2, v43
	v_sub_f16_e32 v77, v6, v8
	v_add_f16_e32 v79, v44, v10
	v_add_f16_e32 v67, v67, v9
	v_add3_u32 v49, 0, v30, v28
	v_fma_f16 v68, v34, 2.0, -v60
	v_fma_f16 v69, v11, 2.0, -v61
	;; [unrolled: 1-line block ×8, first 2 shown]
	s_barrier_signal -1
	s_barrier_wait -1
	global_inv scope:SCOPE_SE
	ds_load_u16 v6, v25 offset:832
	ds_load_u16 v5, v27
	ds_load_u16 v11, v49
	;; [unrolled: 1-line block ×3, first 2 shown]
	ds_load_u16 v12, v25 offset:128
	ds_load_u16 v44, v25 offset:160
	ds_load_u16 v7, v25 offset:192
	ds_load_u16 v13, v25 offset:224
	ds_load_u16 v32, v25 offset:256
	ds_load_u16 v9, v25 offset:352
	ds_load_u16 v15, v25 offset:384
	ds_load_u16 v34, v25 offset:416
	ds_load_u16 v8, v25 offset:512
	ds_load_u16 v14, v25 offset:544
	ds_load_u16 v33, v25 offset:576
	ds_load_u16 v10, v25 offset:672
	ds_load_u16 v31, v25 offset:704
	ds_load_u16 v38, v25 offset:736
	ds_load_u16 v30, v25 offset:864
	ds_load_u16 v37, v25 offset:896
	ds_load_u16 v47, v25 offset:320
	ds_load_u16 v39, v25 offset:288
	ds_load_u16 v45, v25 offset:480
	ds_load_u16 v40, v25 offset:448
	ds_load_u16 v46, v25 offset:800
	ds_load_u16 v42, v25 offset:768
	ds_load_u16 v48, v25 offset:640
	ds_load_u16 v41, v25 offset:608
	ds_load_u16 v4, v26
	ds_load_u16 v43, v25 offset:928
	global_wb scope:SCOPE_SE
	s_wait_dscnt 0x0
	s_barrier_signal -1
	s_barrier_wait -1
	global_inv scope:SCOPE_SE
	ds_store_b16 v91, v68
	ds_store_b16 v91, v69 offset:20
	ds_store_b16 v91, v62 offset:40
	ds_store_b16 v91, v72 offset:60
	ds_store_b16 v91, v60 offset:80
	ds_store_b16 v91, v61 offset:100
	ds_store_b16 v91, v57 offset:120
	ds_store_b16 v91, v59 offset:140
	ds_store_b16 v90, v74
	ds_store_b16 v90, v75 offset:20
	ds_store_b16 v90, v58 offset:40
	ds_store_b16 v90, v80 offset:60
	ds_store_b16 v90, v63 offset:80
	ds_store_b16 v90, v71 offset:100
	ds_store_b16 v90, v76 offset:120
	ds_store_b16 v90, v70 offset:140
	;; [unrolled: 8-line block ×3, first 2 shown]
	s_and_saveexec_b32 s1, s0
	s_cbranch_execz .LBB0_21
; %bb.20:
	v_mul_f16_e32 v29, v29, v65
	v_fma_f16 v1, v66, 2.0, -v1
	s_delay_alu instid0(VALU_DEP_2) | instskip(SKIP_1) | instid1(VALU_DEP_2)
	v_fmac_f16_e32 v29, v36, v3
	v_fma_f16 v36, v50, 2.0, -v53
	v_sub_f16_e32 v3, v35, v29
	s_delay_alu instid0(VALU_DEP_1) | instskip(SKIP_2) | instid1(VALU_DEP_3)
	v_fma_f16 v29, v35, 2.0, -v3
	v_add_f16_e32 v0, v3, v0
	v_mul_u32_u24_e32 v35, 0x50, v73
	v_sub_f16_e32 v1, v29, v1
	s_delay_alu instid0(VALU_DEP_3) | instskip(NEXT) | instid1(VALU_DEP_3)
	v_fma_f16 v3, v3, 2.0, -v0
	v_or_b32_e32 v35, v35, v64
	v_add_f16_e32 v53, v0, v54
	s_delay_alu instid0(VALU_DEP_4) | instskip(NEXT) | instid1(VALU_DEP_4)
	v_fma_f16 v29, v29, 2.0, -v1
	v_sub_f16_e32 v50, v3, v56
	s_delay_alu instid0(VALU_DEP_4)
	v_lshlrev_b32_e32 v35, 1, v35
	v_add_f16_e32 v51, v1, v51
	v_add_f16_e32 v52, v52, v53
	v_sub_f16_e32 v36, v29, v36
	v_add_f16_e32 v50, v55, v50
	v_add3_u32 v28, 0, v35, v28
	v_fma_f16 v1, v1, 2.0, -v51
	v_fma_f16 v0, v0, 2.0, -v52
	;; [unrolled: 1-line block ×4, first 2 shown]
	ds_store_b16 v28, v29
	ds_store_b16 v28, v3 offset:20
	ds_store_b16 v28, v1 offset:40
	;; [unrolled: 1-line block ×7, first 2 shown]
.LBB0_21:
	s_wait_alu 0xfffe
	s_or_b32 exec_lo, exec_lo, s1
	global_wb scope:SCOPE_SE
	s_wait_dscnt 0x0
	s_barrier_signal -1
	s_barrier_wait -1
	global_inv scope:SCOPE_SE
	s_and_saveexec_b32 s0, vcc_lo
	s_cbranch_execz .LBB0_23
; %bb.22:
	v_or_b32_e32 v0, 64, v20
	v_mul_u32_u24_e32 v1, 5, v20
	s_delay_alu instid0(VALU_DEP_2) | instskip(NEXT) | instid1(VALU_DEP_2)
	v_mul_u32_u24_e32 v0, 5, v0
	v_lshlrev_b32_e32 v1, 2, v1
	s_delay_alu instid0(VALU_DEP_2)
	v_lshlrev_b32_e32 v3, 2, v0
	v_mul_i32_i24_e32 v0, 5, v23
	s_clause 0x2
	global_load_b128 v[50:53], v1, s[8:9] offset:280
	global_load_b32 v35, v1, s[8:9] offset:296
	global_load_b128 v[54:57], v3, s[8:9] offset:280
	v_mov_b32_e32 v1, 0
	global_load_b32 v3, v3, s[8:9] offset:296
	v_lshlrev_b64_e32 v[28:29], 2, v[0:1]
	v_mul_i32_i24_e32 v0, 5, v22
	s_delay_alu instid0(VALU_DEP_1) | instskip(NEXT) | instid1(VALU_DEP_3)
	v_lshlrev_b64_e32 v[22:23], 2, v[0:1]
	v_add_co_u32 v28, vcc_lo, s8, v28
	s_wait_alu 0xfffd
	s_delay_alu instid0(VALU_DEP_4) | instskip(SKIP_1) | instid1(VALU_DEP_4)
	v_add_co_ci_u32_e32 v29, vcc_lo, s9, v29, vcc_lo
	v_mul_i32_i24_e32 v0, 5, v21
	v_add_co_u32 v22, vcc_lo, s8, v22
	s_wait_alu 0xfffd
	v_add_co_ci_u32_e32 v23, vcc_lo, s9, v23, vcc_lo
	s_clause 0x3
	global_load_b128 v[58:61], v[28:29], off offset:280
	global_load_b32 v28, v[28:29], off offset:296
	global_load_b128 v[62:65], v[22:23], off offset:280
	global_load_b32 v23, v[22:23], off offset:296
	v_lshlrev_b64_e32 v[21:22], 2, v[0:1]
	s_delay_alu instid0(VALU_DEP_1) | instskip(SKIP_1) | instid1(VALU_DEP_2)
	v_add_co_u32 v21, vcc_lo, s8, v21
	s_wait_alu 0xfffd
	v_add_co_ci_u32_e32 v22, vcc_lo, s9, v22, vcc_lo
	s_clause 0x1
	global_load_b128 v[66:69], v[21:22], off offset:280
	global_load_b32 v0, v[21:22], off offset:296
	ds_load_u16 v29, v25 offset:768
	ds_load_u16 v36, v25 offset:160
	;; [unrolled: 1-line block ×3, first 2 shown]
	ds_load_u16 v49, v49
	ds_load_u16 v27, v27
	;; [unrolled: 1-line block ×3, first 2 shown]
	ds_load_u16 v71, v25 offset:928
	ds_load_u16 v72, v25 offset:896
	;; [unrolled: 1-line block ×23, first 2 shown]
	ds_load_u16 v24, v24
	v_mul_lo_u32 v21, s3, v18
	v_mul_lo_u32 v22, s2, v19
	v_mad_co_u64_u32 v[18:19], null, s2, v18, 0
	s_delay_alu instid0(VALU_DEP_1) | instskip(NEXT) | instid1(VALU_DEP_1)
	v_add3_u32 v19, v19, v22, v21
	v_lshlrev_b64_e32 v[18:19], 2, v[18:19]
	s_delay_alu instid0(VALU_DEP_1) | instskip(SKIP_1) | instid1(VALU_DEP_2)
	v_add_co_u32 v18, vcc_lo, s6, v18
	s_wait_alu 0xfffd
	v_add_co_ci_u32_e32 v19, vcc_lo, s7, v19, vcc_lo
	s_wait_loadcnt 0x9
	v_lshrrev_b32_e32 v21, 16, v50
	v_lshrrev_b32_e32 v22, 16, v51
	;; [unrolled: 1-line block ×4, first 2 shown]
	s_wait_loadcnt 0x8
	v_lshrrev_b32_e32 v95, 16, v35
	s_wait_loadcnt 0x7
	v_lshrrev_b32_e32 v96, 16, v54
	v_lshrrev_b32_e32 v97, 16, v55
	;; [unrolled: 1-line block ×4, first 2 shown]
	s_wait_dscnt 0x10
	v_mul_f16_e32 v100, v55, v78
	v_mul_f16_e32 v101, v57, v29
	s_wait_loadcnt 0x6
	v_lshrrev_b32_e32 v102, 16, v3
	v_mul_f16_e32 v103, v56, v70
	v_mul_f16_e32 v104, v3, v71
	s_wait_dscnt 0xb
	v_mul_f16_e32 v105, v54, v83
	v_mul_f16_e32 v106, v82, v22
	s_wait_dscnt 0x2
	v_mul_f16_e32 v107, v92, v94
	v_mul_f16_e32 v22, v47, v22
	;; [unrolled: 1-line block ×9, first 2 shown]
	s_wait_loadcnt 0x5
	v_lshrrev_b32_e32 v111, 16, v58
	v_lshrrev_b32_e32 v112, 16, v59
	;; [unrolled: 1-line block ×4, first 2 shown]
	s_wait_loadcnt 0x4
	v_lshrrev_b32_e32 v116, 16, v28
	v_mul_f16_e32 v115, v61, v89
	v_mul_f16_e32 v117, v28, v72
	v_mul_f16_e32 v78, v97, v78
	v_mul_f16_e32 v29, v99, v29
	v_fmac_f16_e32 v100, v40, v97
	v_fmac_f16_e32 v101, v42, v99
	v_mul_f16_e32 v83, v96, v83
	v_mul_f16_e32 v70, v98, v70
	v_mul_f16_e32 v71, v102, v71
	v_fmac_f16_e32 v103, v41, v98
	v_fmac_f16_e32 v104, v43, v102
	v_fmac_f16_e32 v105, v39, v96
	v_fma_f16 v47, v47, v51, -v106
	v_fma_f16 v48, v48, v53, -v107
	v_fmac_f16_e32 v22, v51, v82
	v_fmac_f16_e32 v94, v53, v92
	v_fma_f16 v44, v44, v50, -v108
	v_fma_f16 v45, v45, v52, -v109
	;; [unrolled: 1-line block ×3, first 2 shown]
	v_fmac_f16_e32 v93, v52, v77
	v_fmac_f16_e32 v95, v35, v88
	;; [unrolled: 1-line block ×3, first 2 shown]
	v_mul_f16_e32 v35, v79, v112
	v_mul_f16_e32 v36, v114, v89
	;; [unrolled: 1-line block ×8, first 2 shown]
	s_wait_loadcnt 0x3
	v_lshrrev_b32_e32 v82, 16, v62
	v_lshrrev_b32_e32 v88, 16, v63
	;; [unrolled: 1-line block ×4, first 2 shown]
	s_wait_loadcnt 0x2
	v_lshrrev_b32_e32 v96, 16, v23
	v_fmac_f16_e32 v115, v38, v114
	v_fmac_f16_e32 v117, v37, v116
	v_fma_f16 v40, v40, v55, -v78
	v_fma_f16 v29, v42, v57, -v29
	v_add_f16_e32 v42, v100, v101
	v_fma_f16 v39, v39, v54, -v83
	v_fma_f16 v41, v41, v56, -v70
	;; [unrolled: 1-line block ×3, first 2 shown]
	v_add_f16_e32 v3, v103, v104
	s_wait_dscnt 0x1
	v_add_f16_e32 v55, v100, v25
	v_add_f16_e32 v56, v105, v103
	v_fma_f16 v34, v34, v59, -v35
	v_fma_f16 v35, v38, v61, -v36
	v_fmac_f16_e32 v50, v59, v79
	v_fma_f16 v32, v32, v58, -v51
	v_fma_f16 v33, v33, v60, -v52
	;; [unrolled: 1-line block ×3, first 2 shown]
	v_fmac_f16_e32 v72, v60, v74
	v_fmac_f16_e32 v77, v58, v84
	v_mul_f16_e32 v36, v80, v88
	v_mul_f16_e32 v37, v90, v92
	;; [unrolled: 1-line block ×10, first 2 shown]
	s_wait_loadcnt 0x1
	v_lshrrev_b32_e32 v79, 16, v67
	v_lshrrev_b32_e32 v82, 16, v68
	;; [unrolled: 1-line block ×3, first 2 shown]
	s_wait_loadcnt 0x0
	v_lshrrev_b32_e32 v84, 16, v0
	v_sub_f16_e32 v54, v103, v104
	v_sub_f16_e32 v57, v100, v101
	v_lshrrev_b32_e32 v74, 16, v66
	v_sub_f16_e32 v88, v40, v29
	v_fma_f16 v25, -0.5, v42, v25
	v_add_f16_e32 v42, v41, v43
	v_sub_f16_e32 v89, v41, v43
	v_fma_f16 v92, -0.5, v3, v105
	v_add_f16_e32 v55, v101, v55
	v_add_f16_e32 v56, v56, v104
	;; [unrolled: 1-line block ×5, first 2 shown]
	v_sub_f16_e32 v97, v34, v35
	v_add_f16_e32 v98, v50, v115
	v_add_f16_e32 v99, v33, v28
	v_sub_f16_e32 v100, v72, v117
	v_sub_f16_e32 v101, v33, v28
	v_add_f16_e32 v102, v72, v117
	v_add_f16_e32 v103, v50, v49
	;; [unrolled: 1-line block ×6, first 2 shown]
	v_fma_f16 v15, v15, v63, -v36
	v_fma_f16 v31, v31, v65, -v37
	v_fmac_f16_e32 v38, v63, v80
	v_fmac_f16_e32 v51, v65, v90
	v_fma_f16 v36, v13, v62, -v52
	v_fma_f16 v13, v14, v64, -v53
	;; [unrolled: 1-line block ×3, first 2 shown]
	v_fmac_f16_e32 v59, v64, v75
	v_fmac_f16_e32 v60, v23, v73
	;; [unrolled: 1-line block ×3, first 2 shown]
	v_mul_f16_e32 v30, v91, v83
	v_mul_f16_e32 v37, v9, v79
	;; [unrolled: 1-line block ×10, first 2 shown]
	v_fma_f16 v39, -0.5, v42, v39
	v_fmamk_f16 v42, v89, 0x3aee, v92
	v_fmac_f16_e32 v92, 0xbaee, v89
	v_sub_f16_e32 v3, v55, v56
	v_fma_f16 v74, -0.5, v96, v12
	v_add_f16_e32 v29, v40, v29
	v_add_f16_e32 v40, v41, v43
	;; [unrolled: 1-line block ×3, first 2 shown]
	v_fma_f16 v41, -0.5, v98, v49
	v_fma_f16 v32, -0.5, v99, v32
	v_add_f16_e32 v49, v115, v103
	v_add_f16_e32 v55, v72, v117
	;; [unrolled: 1-line block ×4, first 2 shown]
	v_sub_f16_e32 v33, v15, v31
	v_add_f16_e32 v35, v38, v51
	v_add_f16_e32 v72, v13, v14
	;; [unrolled: 1-line block ×6, first 2 shown]
	v_fma_f16 v10, v10, v69, -v30
	v_fmac_f16_e32 v37, v67, v81
	v_fmac_f16_e32 v52, v69, v91
	v_fma_f16 v8, v8, v68, -v58
	v_fma_f16 v30, v6, v0, -v62
	v_fmac_f16_e32 v63, v68, v76
	v_fmac_f16_e32 v64, v0, v87
	v_sub_f16_e32 v50, v50, v115
	v_fma_f16 v43, -0.5, v102, v77
	v_fma_f16 v56, -0.5, v104, v11
	v_sub_f16_e32 v75, v59, v60
	v_sub_f16_e32 v77, v13, v14
	v_add_f16_e32 v59, v61, v59
	v_sub_f16_e32 v38, v38, v51
	v_add_f16_e32 v83, v36, v13
	v_fma_f16 v9, v9, v67, -v23
	v_fma_f16 v23, v7, v66, -v53
	v_fmac_f16_e32 v65, v66, v86
	v_fmamk_f16 v0, v54, 0xbaee, v39
	v_mul_f16_e32 v53, -0.5, v42
	v_fmac_f16_e32 v39, 0x3aee, v54
	v_fmamk_f16 v54, v57, 0xbaee, v74
	v_fmac_f16_e32 v74, 0x3aee, v57
	v_mul_f16_e32 v57, 0x3aee, v92
	v_sub_f16_e32 v6, v29, v40
	v_add_f16_e32 v7, v29, v40
	v_fmamk_f16 v40, v100, 0xbaee, v32
	v_sub_f16_e32 v11, v49, v55
	v_sub_f16_e32 v13, v34, v28
	v_add_f16_e32 v49, v49, v55
	v_add_f16_e32 v34, v34, v28
	v_fma_f16 v27, -0.5, v35, v27
	v_fma_f16 v28, -0.5, v72, v36
	;; [unrolled: 1-line block ×3, first 2 shown]
	v_add_f16_e32 v36, v51, v80
	v_fma_f16 v51, -0.5, v82, v5
	v_add_f16_e32 v5, v15, v31
	v_add_f16_e32 v31, v37, v52
	;; [unrolled: 1-line block ×4, first 2 shown]
	v_fmamk_f16 v58, v101, 0x3aee, v43
	v_fmac_f16_e32 v32, 0x3aee, v100
	v_fmamk_f16 v62, v50, 0xbaee, v56
	v_fmac_f16_e32 v56, 0x3aee, v50
	v_add_f16_e32 v50, v59, v60
	v_add_f16_e32 v14, v83, v14
	v_sub_f16_e32 v59, v63, v64
	v_sub_f16_e32 v60, v8, v30
	v_add_f16_e32 v66, v37, v26
	v_add_f16_e32 v63, v65, v63
	;; [unrolled: 1-line block ×3, first 2 shown]
	v_fmac_f16_e32 v53, 0xbaee, v0
	v_mul_f16_e32 v68, 0xbaee, v39
	v_mul_f16_e32 v0, -0.5, v0
	v_fmac_f16_e32 v57, 0.5, v39
	v_mul_f16_e32 v72, -0.5, v40
	v_fma_f16 v26, -0.5, v31, v26
	v_fma_f16 v23, -0.5, v55, v23
	;; [unrolled: 1-line block ×3, first 2 shown]
	v_fmamk_f16 v73, v88, 0x3aee, v25
	v_fmac_f16_e32 v25, 0xbaee, v88
	v_fmac_f16_e32 v43, 0xbaee, v101
	v_sub_f16_e32 v15, v9, v10
	v_add_f16_e32 v67, v9, v10
	v_sub_f16_e32 v37, v37, v52
	v_add_f16_e32 v9, v4, v9
	v_mul_f16_e32 v39, -0.5, v58
	v_mul_f16_e32 v69, 0xbaee, v32
	v_fmamk_f16 v79, v33, 0x3aee, v27
	v_fmamk_f16 v80, v75, 0xbaee, v28
	;; [unrolled: 1-line block ×3, first 2 shown]
	v_fmac_f16_e32 v27, 0xbaee, v33
	v_fmac_f16_e32 v35, 0xbaee, v77
	v_fmac_f16_e32 v28, 0x3aee, v75
	v_sub_f16_e32 v33, v36, v50
	v_fmamk_f16 v75, v38, 0xbaee, v51
	v_fmac_f16_e32 v51, 0x3aee, v38
	v_sub_f16_e32 v38, v5, v14
	v_add_f16_e32 v36, v36, v50
	v_add_f16_e32 v50, v5, v14
	;; [unrolled: 1-line block ×4, first 2 shown]
	v_fmac_f16_e32 v68, 0.5, v92
	v_fmac_f16_e32 v0, 0x3aee, v42
	v_sub_f16_e32 v5, v74, v57
	v_add_f16_e32 v14, v74, v57
	v_fmac_f16_e32 v72, 0x3aee, v58
	v_fmamk_f16 v57, v59, 0xbaee, v23
	v_fmamk_f16 v58, v60, 0x3aee, v31
	v_fmac_f16_e32 v23, 0x3aee, v59
	v_fmamk_f16 v29, v97, 0x3aee, v41
	v_mul_f16_e32 v76, 0x3aee, v43
	v_add_f16_e32 v63, v9, v10
	v_add_f16_e32 v30, v8, v30
	v_fmac_f16_e32 v39, 0xbaee, v40
	v_fmac_f16_e32 v69, 0.5, v43
	v_mul_f16_e32 v40, 0xbaee, v28
	v_mul_f16_e32 v43, 0x3aee, v35
	v_fmac_f16_e32 v31, 0xbaee, v60
	v_sub_f16_e32 v59, v52, v55
	v_add_f16_e32 v52, v52, v55
	v_sub_f16_e32 v10, v25, v68
	v_sub_f16_e32 v8, v54, v0
	v_add_f16_e32 v55, v25, v68
	v_add_f16_e32 v54, v54, v0
	v_mul_f16_e32 v0, -0.5, v58
	v_mul_f16_e32 v25, 0xbaee, v23
	v_add_f16_e32 v70, v45, v46
	v_fmac_f16_e32 v41, 0xbaee, v97
	v_fma_f16 v61, -0.5, v67, v4
	v_sub_f16_e32 v4, v73, v53
	v_add_f16_e32 v9, v73, v53
	v_fmamk_f16 v53, v15, 0x3aee, v26
	v_fmac_f16_e32 v26, 0xbaee, v15
	v_sub_f16_e32 v60, v29, v39
	v_add_f16_e32 v39, v29, v39
	v_fmac_f16_e32 v40, 0.5, v35
	v_fmac_f16_e32 v43, 0.5, v28
	v_mul_f16_e32 v28, -0.5, v57
	v_mul_f16_e32 v29, 0x3aee, v31
	v_fmac_f16_e32 v0, 0xbaee, v57
	v_fmac_f16_e32 v25, 0.5, v31
	v_fmamk_f16 v15, v37, 0xbaee, v61
	v_sub_f16_e32 v64, v41, v69
	v_add_f16_e32 v41, v41, v69
	v_sub_f16_e32 v67, v27, v40
	v_sub_f16_e32 v69, v51, v43
	v_add_f16_e32 v40, v27, v40
	v_fmac_f16_e32 v28, 0x3aee, v58
	v_fmac_f16_e32 v29, 0.5, v23
	v_add_f16_e32 v43, v51, v43
	v_sub_f16_e32 v31, v53, v0
	v_sub_f16_e32 v51, v26, v25
	v_add_f16_e32 v27, v53, v0
	v_add_f16_e32 v23, v26, v25
	;; [unrolled: 1-line block ×3, first 2 shown]
	v_fma_f16 v25, -0.5, v70, v44
	v_sub_f16_e32 v26, v93, v95
	v_fmac_f16_e32 v61, 0x3aee, v37
	v_sub_f16_e32 v37, v63, v30
	v_sub_f16_e32 v57, v15, v28
	v_add_f16_e32 v28, v15, v28
	v_sub_f16_e32 v15, v47, v48
	s_wait_dscnt 0x0
	v_fma_f16 v0, -0.5, v0, v24
	v_fmamk_f16 v70, v26, 0xbaee, v25
	v_fmac_f16_e32 v25, 0x3aee, v26
	v_add_f16_e32 v26, v63, v30
	v_add_f16_e32 v24, v22, v24
	;; [unrolled: 1-line block ×3, first 2 shown]
	v_fmamk_f16 v30, v15, 0x3aee, v0
	v_fmac_f16_e32 v0, 0xbaee, v15
	v_sub_f16_e32 v22, v22, v94
	v_add_f16_e32 v15, v94, v24
	v_fma_f16 v24, -0.5, v63, v2
	v_add_f16_e32 v2, v2, v47
	v_mul_hi_u32 v47, 0xcccccccd, v20
	v_add_f16_e32 v78, v93, v95
	v_sub_f16_e32 v71, v45, v46
	v_fmamk_f16 v74, v22, 0xbaee, v24
	v_fmac_f16_e32 v24, 0x3aee, v22
	v_add_nc_u32_e32 v22, 16, v20
	v_fma_f16 v78, -0.5, v78, v21
	v_add_f16_e32 v44, v44, v45
	v_lshrrev_b32_e32 v45, 6, v47
	v_add_f16_e32 v21, v21, v93
	v_mul_hi_u32 v47, 0xcccccccd, v22
	v_sub_f16_e32 v58, v61, v29
	v_fmamk_f16 v53, v71, 0x3aee, v78
	v_add_f16_e32 v29, v61, v29
	v_fmac_f16_e32 v78, 0xbaee, v71
	v_mul_f16_e32 v61, 0xbaee, v25
	v_mul_f16_e32 v63, -0.5, v70
	v_mul_lo_u32 v45, 0x50, v45
	v_add_f16_e32 v21, v21, v95
	v_sub_f16_e32 v65, v62, v72
	v_add_f16_e32 v62, v62, v72
	v_mul_f16_e32 v72, -0.5, v53
	v_fmac_f16_e32 v61, 0.5, v78
	v_fmac_f16_e32 v63, 0x3aee, v53
	v_mul_f16_e32 v53, 0x3aee, v78
	v_lshrrev_b32_e32 v47, 6, v47
	v_sub_f16_e32 v73, v15, v21
	v_add_f16_e32 v21, v15, v21
	v_lshlrev_b64_e32 v[15:16], 2, v[16:17]
	v_sub_f16_e32 v71, v0, v61
	v_fmac_f16_e32 v53, 0.5, v25
	v_add_f16_e32 v2, v2, v48
	v_add_f16_e32 v25, v44, v46
	;; [unrolled: 1-line block ×3, first 2 shown]
	v_sub_nc_u32_e32 v0, v20, v45
	v_mul_lo_u32 v17, 0x50, v47
	v_fmac_f16_e32 v72, 0xbaee, v70
	v_sub_f16_e32 v48, v2, v25
	v_add_f16_e32 v2, v2, v25
	v_lshlrev_b32_e32 v25, 2, v0
	v_add_co_u32 v45, vcc_lo, v18, v15
	v_sub_f16_e32 v46, v24, v53
	v_add_f16_e32 v24, v24, v53
	s_wait_alu 0xfffd
	v_add_co_ci_u32_e32 v53, vcc_lo, v19, v16, vcc_lo
	v_sub_f16_e32 v70, v30, v72
	v_sub_f16_e32 v44, v74, v63
	v_add_f16_e32 v30, v30, v72
	v_add_f16_e32 v63, v74, v63
	v_sub_nc_u32_e32 v0, v22, v17
	v_add_co_u32 v15, vcc_lo, v45, v25
	s_wait_alu 0xfffd
	v_add_co_ci_u32_e32 v16, vcc_lo, 0, v53, vcc_lo
	v_pack_b32_f16 v2, v2, v21
	v_pack_b32_f16 v21, v24, v61
	v_mad_co_u64_u32 v[17:18], null, 0x1e0, v47, v[0:1]
	v_pack_b32_f16 v22, v63, v30
	v_pack_b32_f16 v24, v48, v73
	v_pack_b32_f16 v25, v46, v71
	v_pack_b32_f16 v30, v44, v70
	s_clause 0x5
	global_store_b32 v[15:16], v2, off
	global_store_b32 v[15:16], v21, off offset:320
	global_store_b32 v[15:16], v22, off offset:640
	;; [unrolled: 1-line block ×5, first 2 shown]
	v_add_nc_u32_e32 v2, 32, v20
	v_add_nc_u32_e32 v0, 0x50, v17
	v_mov_b32_e32 v18, v1
	v_pack_b32_f16 v46, v29, v23
	v_pack_b32_f16 v47, v28, v27
	v_mul_hi_u32 v25, 0xcccccccd, v2
	v_lshlrev_b64_e32 v[15:16], 2, v[0:1]
	v_add_nc_u32_e32 v0, 0xa0, v17
	v_lshlrev_b64_e32 v[18:19], 2, v[17:18]
	v_pack_b32_f16 v44, v26, v52
	v_pack_b32_f16 v37, v37, v59
	v_fmac_f16_e32 v76, 0.5, v32
	v_lshlrev_b64_e32 v[21:22], 2, v[0:1]
	v_lshrrev_b32_e32 v29, 6, v25
	v_add_nc_u32_e32 v0, 0xf0, v17
	v_add_co_u32 v18, vcc_lo, v45, v18
	s_wait_alu 0xfffd
	v_add_co_ci_u32_e32 v19, vcc_lo, v53, v19, vcc_lo
	v_mul_lo_u32 v27, 0x50, v29
	v_lshlrev_b64_e32 v[23:24], 2, v[0:1]
	v_add_nc_u32_e32 v0, 0x140, v17
	v_add_co_u32 v15, vcc_lo, v45, v15
	s_wait_alu 0xfffd
	v_add_co_ci_u32_e32 v16, vcc_lo, v53, v16, vcc_lo
	s_delay_alu instid0(VALU_DEP_3)
	v_lshlrev_b64_e32 v[25:26], 2, v[0:1]
	v_add_nc_u32_e32 v0, 0x190, v17
	v_sub_nc_u32_e32 v2, v2, v27
	v_add_co_u32 v21, vcc_lo, v45, v21
	s_wait_alu 0xfffd
	v_add_co_ci_u32_e32 v22, vcc_lo, v53, v22, vcc_lo
	v_add_co_u32 v23, vcc_lo, v45, v23
	v_lshlrev_b64_e32 v[27:28], 2, v[0:1]
	v_mad_co_u64_u32 v[29:30], null, 0x1e0, v29, v[2:3]
	v_mov_b32_e32 v30, v1
	s_wait_alu 0xfffd
	v_add_co_ci_u32_e32 v24, vcc_lo, v53, v24, vcc_lo
	v_add_co_u32 v25, vcc_lo, v45, v25
	s_wait_alu 0xfffd
	v_add_co_ci_u32_e32 v26, vcc_lo, v53, v26, vcc_lo
	v_add_co_u32 v27, vcc_lo, v45, v27
	v_pack_b32_f16 v2, v58, v51
	s_wait_alu 0xfffd
	v_add_co_ci_u32_e32 v28, vcc_lo, v53, v28, vcc_lo
	v_pack_b32_f16 v17, v57, v31
	s_clause 0x5
	global_store_b32 v[18:19], v44, off
	global_store_b32 v[15:16], v46, off
	;; [unrolled: 1-line block ×6, first 2 shown]
	v_add_nc_u32_e32 v2, 48, v20
	v_add_nc_u32_e32 v0, 0x50, v29
	v_lshlrev_b64_e32 v[30:31], 2, v[29:30]
	v_mul_f16_e32 v32, -0.5, v81
	v_mul_f16_e32 v42, -0.5, v80
	v_mul_hi_u32 v25, 0xcccccccd, v2
	v_lshlrev_b64_e32 v[15:16], 2, v[0:1]
	v_add_nc_u32_e32 v0, 0xa0, v29
	v_add_co_u32 v17, vcc_lo, v45, v30
	s_wait_alu 0xfffd
	v_add_co_ci_u32_e32 v18, vcc_lo, v53, v31, vcc_lo
	s_delay_alu instid0(VALU_DEP_3) | instskip(SKIP_4) | instid1(VALU_DEP_4)
	v_lshlrev_b64_e32 v[21:22], 2, v[0:1]
	v_add_nc_u32_e32 v0, 0xf0, v29
	v_lshrrev_b32_e32 v30, 6, v25
	v_add_co_u32 v15, vcc_lo, v45, v15
	v_fmac_f16_e32 v32, 0xbaee, v80
	v_lshlrev_b64_e32 v[23:24], 2, v[0:1]
	v_add_nc_u32_e32 v0, 0x140, v29
	v_mul_lo_u32 v27, 0x50, v30
	v_fmac_f16_e32 v42, 0x3aee, v81
	s_wait_alu 0xfffd
	v_add_co_ci_u32_e32 v16, vcc_lo, v53, v16, vcc_lo
	v_lshlrev_b64_e32 v[25:26], 2, v[0:1]
	v_add_nc_u32_e32 v0, 0x190, v29
	v_add_co_u32 v21, vcc_lo, v45, v21
	s_wait_alu 0xfffd
	v_add_co_ci_u32_e32 v22, vcc_lo, v53, v22, vcc_lo
	v_sub_f16_e32 v35, v79, v32
	v_sub_f16_e32 v68, v75, v42
	v_add_f16_e32 v32, v79, v32
	v_add_f16_e32 v42, v75, v42
	v_add_co_u32 v23, vcc_lo, v45, v23
	v_sub_nc_u32_e32 v2, v2, v27
	v_lshlrev_b64_e32 v[27:28], 2, v[0:1]
	s_wait_alu 0xfffd
	v_add_co_ci_u32_e32 v24, vcc_lo, v53, v24, vcc_lo
	v_pack_b32_f16 v19, v50, v36
	v_add_co_u32 v25, vcc_lo, v45, v25
	v_pack_b32_f16 v36, v43, v40
	v_pack_b32_f16 v32, v42, v32
	s_wait_alu 0xfffd
	v_add_co_ci_u32_e32 v26, vcc_lo, v53, v26, vcc_lo
	v_pack_b32_f16 v33, v38, v33
	v_add_co_u32 v27, vcc_lo, v45, v27
	v_mad_co_u64_u32 v[29:30], null, 0x1e0, v30, v[2:3]
	v_pack_b32_f16 v2, v69, v67
	s_wait_alu 0xfffd
	v_add_co_ci_u32_e32 v28, vcc_lo, v53, v28, vcc_lo
	v_pack_b32_f16 v35, v68, v35
	s_clause 0x5
	global_store_b32 v[17:18], v19, off
	global_store_b32 v[15:16], v36, off
	;; [unrolled: 1-line block ×6, first 2 shown]
	v_add_nc_u32_e32 v2, 64, v20
	v_add_nc_u32_e32 v0, 0x50, v29
	v_mov_b32_e32 v30, v1
	v_sub_f16_e32 v66, v56, v76
	v_add_f16_e32 v56, v56, v76
	v_mul_hi_u32 v23, 0xcccccccd, v2
	v_lshlrev_b64_e32 v[15:16], 2, v[0:1]
	v_add_nc_u32_e32 v0, 0xa0, v29
	v_lshlrev_b64_e32 v[30:31], 2, v[29:30]
	v_pack_b32_f16 v32, v62, v39
	v_pack_b32_f16 v11, v13, v11
	;; [unrolled: 1-line block ×3, first 2 shown]
	v_lshlrev_b64_e32 v[19:20], 2, v[0:1]
	v_lshrrev_b32_e32 v27, 6, v23
	v_add_nc_u32_e32 v0, 0xf0, v29
	v_add_co_u32 v17, vcc_lo, v45, v30
	s_wait_alu 0xfffd
	v_add_co_ci_u32_e32 v18, vcc_lo, v53, v31, vcc_lo
	v_mul_lo_u32 v25, 0x50, v27
	v_lshlrev_b64_e32 v[21:22], 2, v[0:1]
	v_add_nc_u32_e32 v0, 0x140, v29
	v_add_co_u32 v15, vcc_lo, v45, v15
	s_wait_alu 0xfffd
	v_add_co_ci_u32_e32 v16, vcc_lo, v53, v16, vcc_lo
	s_delay_alu instid0(VALU_DEP_3)
	v_lshlrev_b64_e32 v[23:24], 2, v[0:1]
	v_sub_nc_u32_e32 v2, v2, v25
	v_add_nc_u32_e32 v0, 0x190, v29
	v_add_co_u32 v19, vcc_lo, v45, v19
	s_wait_alu 0xfffd
	v_add_co_ci_u32_e32 v20, vcc_lo, v53, v20, vcc_lo
	v_mad_co_u64_u32 v[27:28], null, 0x1e0, v27, v[2:3]
	v_add_co_u32 v21, vcc_lo, v45, v21
	v_lshlrev_b64_e32 v[25:26], 2, v[0:1]
	s_wait_alu 0xfffd
	v_add_co_ci_u32_e32 v22, vcc_lo, v53, v22, vcc_lo
	v_pack_b32_f16 v30, v34, v49
	v_add_co_u32 v23, vcc_lo, v45, v23
	v_add_nc_u32_e32 v0, 0x50, v27
	v_pack_b32_f16 v31, v56, v41
	s_wait_alu 0xfffd
	v_add_co_ci_u32_e32 v24, vcc_lo, v53, v24, vcc_lo
	v_add_co_u32 v25, vcc_lo, v45, v25
	v_pack_b32_f16 v2, v66, v64
	v_mov_b32_e32 v28, v1
	s_wait_alu 0xfffd
	v_add_co_ci_u32_e32 v26, vcc_lo, v53, v26, vcc_lo
	s_clause 0x5
	global_store_b32 v[17:18], v30, off
	global_store_b32 v[15:16], v31, off
	global_store_b32 v[19:20], v32, off
	global_store_b32 v[21:22], v11, off
	global_store_b32 v[23:24], v2, off
	global_store_b32 v[25:26], v13, off
	v_lshlrev_b64_e32 v[15:16], 2, v[0:1]
	v_add_nc_u32_e32 v0, 0xa0, v27
	v_lshlrev_b64_e32 v[28:29], 2, v[27:28]
	v_pack_b32_f16 v7, v7, v12
	v_pack_b32_f16 v21, v14, v55
	;; [unrolled: 1-line block ×3, first 2 shown]
	v_lshlrev_b64_e32 v[11:12], 2, v[0:1]
	v_add_nc_u32_e32 v0, 0xf0, v27
	v_add_co_u32 v17, vcc_lo, v45, v28
	s_wait_alu 0xfffd
	v_add_co_ci_u32_e32 v18, vcc_lo, v53, v29, vcc_lo
	s_delay_alu instid0(VALU_DEP_3) | instskip(SKIP_4) | instid1(VALU_DEP_3)
	v_lshlrev_b64_e32 v[13:14], 2, v[0:1]
	v_add_nc_u32_e32 v0, 0x140, v27
	v_add_co_u32 v15, vcc_lo, v45, v15
	s_wait_alu 0xfffd
	v_add_co_ci_u32_e32 v16, vcc_lo, v53, v16, vcc_lo
	v_lshlrev_b64_e32 v[19:20], 2, v[0:1]
	v_add_nc_u32_e32 v0, 0x190, v27
	v_add_co_u32 v11, vcc_lo, v45, v11
	s_wait_alu 0xfffd
	v_add_co_ci_u32_e32 v12, vcc_lo, v53, v12, vcc_lo
	v_add_co_u32 v13, vcc_lo, v45, v13
	v_lshlrev_b64_e32 v[0:1], 2, v[0:1]
	s_wait_alu 0xfffd
	v_add_co_ci_u32_e32 v14, vcc_lo, v53, v14, vcc_lo
	v_add_co_u32 v2, vcc_lo, v45, v19
	v_pack_b32_f16 v6, v6, v3
	s_wait_alu 0xfffd
	v_add_co_ci_u32_e32 v3, vcc_lo, v53, v20, vcc_lo
	v_add_co_u32 v0, vcc_lo, v45, v0
	v_pack_b32_f16 v5, v5, v10
	s_wait_alu 0xfffd
	v_add_co_ci_u32_e32 v1, vcc_lo, v53, v1, vcc_lo
	v_pack_b32_f16 v4, v8, v4
	s_clause 0x5
	global_store_b32 v[17:18], v7, off
	global_store_b32 v[15:16], v21, off
	;; [unrolled: 1-line block ×6, first 2 shown]
.LBB0_23:
	s_nop 0
	s_sendmsg sendmsg(MSG_DEALLOC_VGPRS)
	s_endpgm
	.section	.rodata,"a",@progbits
	.p2align	6, 0x0
	.amdhsa_kernel fft_rtc_fwd_len480_factors_10_8_6_wgs_64_tpt_16_halfLds_half_op_CI_CI_unitstride_sbrr_dirReg
		.amdhsa_group_segment_fixed_size 0
		.amdhsa_private_segment_fixed_size 0
		.amdhsa_kernarg_size 104
		.amdhsa_user_sgpr_count 2
		.amdhsa_user_sgpr_dispatch_ptr 0
		.amdhsa_user_sgpr_queue_ptr 0
		.amdhsa_user_sgpr_kernarg_segment_ptr 1
		.amdhsa_user_sgpr_dispatch_id 0
		.amdhsa_user_sgpr_private_segment_size 0
		.amdhsa_wavefront_size32 1
		.amdhsa_uses_dynamic_stack 0
		.amdhsa_enable_private_segment 0
		.amdhsa_system_sgpr_workgroup_id_x 1
		.amdhsa_system_sgpr_workgroup_id_y 0
		.amdhsa_system_sgpr_workgroup_id_z 0
		.amdhsa_system_sgpr_workgroup_info 0
		.amdhsa_system_vgpr_workitem_id 0
		.amdhsa_next_free_vgpr 149
		.amdhsa_next_free_sgpr 39
		.amdhsa_reserve_vcc 1
		.amdhsa_float_round_mode_32 0
		.amdhsa_float_round_mode_16_64 0
		.amdhsa_float_denorm_mode_32 3
		.amdhsa_float_denorm_mode_16_64 3
		.amdhsa_fp16_overflow 0
		.amdhsa_workgroup_processor_mode 1
		.amdhsa_memory_ordered 1
		.amdhsa_forward_progress 0
		.amdhsa_round_robin_scheduling 0
		.amdhsa_exception_fp_ieee_invalid_op 0
		.amdhsa_exception_fp_denorm_src 0
		.amdhsa_exception_fp_ieee_div_zero 0
		.amdhsa_exception_fp_ieee_overflow 0
		.amdhsa_exception_fp_ieee_underflow 0
		.amdhsa_exception_fp_ieee_inexact 0
		.amdhsa_exception_int_div_zero 0
	.end_amdhsa_kernel
	.text
.Lfunc_end0:
	.size	fft_rtc_fwd_len480_factors_10_8_6_wgs_64_tpt_16_halfLds_half_op_CI_CI_unitstride_sbrr_dirReg, .Lfunc_end0-fft_rtc_fwd_len480_factors_10_8_6_wgs_64_tpt_16_halfLds_half_op_CI_CI_unitstride_sbrr_dirReg
                                        ; -- End function
	.section	.AMDGPU.csdata,"",@progbits
; Kernel info:
; codeLenInByte = 13792
; NumSgprs: 41
; NumVgprs: 149
; ScratchSize: 0
; MemoryBound: 0
; FloatMode: 240
; IeeeMode: 1
; LDSByteSize: 0 bytes/workgroup (compile time only)
; SGPRBlocks: 5
; VGPRBlocks: 18
; NumSGPRsForWavesPerEU: 41
; NumVGPRsForWavesPerEU: 149
; Occupancy: 9
; WaveLimiterHint : 1
; COMPUTE_PGM_RSRC2:SCRATCH_EN: 0
; COMPUTE_PGM_RSRC2:USER_SGPR: 2
; COMPUTE_PGM_RSRC2:TRAP_HANDLER: 0
; COMPUTE_PGM_RSRC2:TGID_X_EN: 1
; COMPUTE_PGM_RSRC2:TGID_Y_EN: 0
; COMPUTE_PGM_RSRC2:TGID_Z_EN: 0
; COMPUTE_PGM_RSRC2:TIDIG_COMP_CNT: 0
	.text
	.p2alignl 7, 3214868480
	.fill 96, 4, 3214868480
	.type	__hip_cuid_b1f476b7f7a8ae4e,@object ; @__hip_cuid_b1f476b7f7a8ae4e
	.section	.bss,"aw",@nobits
	.globl	__hip_cuid_b1f476b7f7a8ae4e
__hip_cuid_b1f476b7f7a8ae4e:
	.byte	0                               ; 0x0
	.size	__hip_cuid_b1f476b7f7a8ae4e, 1

	.ident	"AMD clang version 19.0.0git (https://github.com/RadeonOpenCompute/llvm-project roc-6.4.0 25133 c7fe45cf4b819c5991fe208aaa96edf142730f1d)"
	.section	".note.GNU-stack","",@progbits
	.addrsig
	.addrsig_sym __hip_cuid_b1f476b7f7a8ae4e
	.amdgpu_metadata
---
amdhsa.kernels:
  - .args:
      - .actual_access:  read_only
        .address_space:  global
        .offset:         0
        .size:           8
        .value_kind:     global_buffer
      - .offset:         8
        .size:           8
        .value_kind:     by_value
      - .actual_access:  read_only
        .address_space:  global
        .offset:         16
        .size:           8
        .value_kind:     global_buffer
      - .actual_access:  read_only
        .address_space:  global
        .offset:         24
        .size:           8
        .value_kind:     global_buffer
      - .actual_access:  read_only
        .address_space:  global
        .offset:         32
        .size:           8
        .value_kind:     global_buffer
      - .offset:         40
        .size:           8
        .value_kind:     by_value
      - .actual_access:  read_only
        .address_space:  global
        .offset:         48
        .size:           8
        .value_kind:     global_buffer
      - .actual_access:  read_only
        .address_space:  global
        .offset:         56
        .size:           8
        .value_kind:     global_buffer
      - .offset:         64
        .size:           4
        .value_kind:     by_value
      - .actual_access:  read_only
        .address_space:  global
        .offset:         72
        .size:           8
        .value_kind:     global_buffer
      - .actual_access:  read_only
        .address_space:  global
        .offset:         80
        .size:           8
        .value_kind:     global_buffer
      - .actual_access:  read_only
        .address_space:  global
        .offset:         88
        .size:           8
        .value_kind:     global_buffer
      - .actual_access:  write_only
        .address_space:  global
        .offset:         96
        .size:           8
        .value_kind:     global_buffer
    .group_segment_fixed_size: 0
    .kernarg_segment_align: 8
    .kernarg_segment_size: 104
    .language:       OpenCL C
    .language_version:
      - 2
      - 0
    .max_flat_workgroup_size: 64
    .name:           fft_rtc_fwd_len480_factors_10_8_6_wgs_64_tpt_16_halfLds_half_op_CI_CI_unitstride_sbrr_dirReg
    .private_segment_fixed_size: 0
    .sgpr_count:     41
    .sgpr_spill_count: 0
    .symbol:         fft_rtc_fwd_len480_factors_10_8_6_wgs_64_tpt_16_halfLds_half_op_CI_CI_unitstride_sbrr_dirReg.kd
    .uniform_work_group_size: 1
    .uses_dynamic_stack: false
    .vgpr_count:     149
    .vgpr_spill_count: 0
    .wavefront_size: 32
    .workgroup_processor_mode: 1
amdhsa.target:   amdgcn-amd-amdhsa--gfx1201
amdhsa.version:
  - 1
  - 2
...

	.end_amdgpu_metadata
